;; amdgpu-corpus repo=ROCm/rocFFT kind=compiled arch=gfx1030 opt=O3
	.text
	.amdgcn_target "amdgcn-amd-amdhsa--gfx1030"
	.amdhsa_code_object_version 6
	.protected	bluestein_single_back_len68_dim1_sp_op_CI_CI ; -- Begin function bluestein_single_back_len68_dim1_sp_op_CI_CI
	.globl	bluestein_single_back_len68_dim1_sp_op_CI_CI
	.p2align	8
	.type	bluestein_single_back_len68_dim1_sp_op_CI_CI,@function
bluestein_single_back_len68_dim1_sp_op_CI_CI: ; @bluestein_single_back_len68_dim1_sp_op_CI_CI
; %bb.0:
	s_load_dwordx4 s[0:3], s[4:5], 0x28
	v_mul_u32_u24_e32 v1, 0xf10, v0
	v_lshrrev_b32_e32 v1, 16, v1
	v_mad_u64_u32 v[36:37], null, s6, 15, v[1:2]
	v_mov_b32_e32 v37, 0
	s_waitcnt lgkmcnt(0)
	v_cmp_gt_u64_e32 vcc_lo, s[0:1], v[36:37]
	s_and_saveexec_b32 s0, vcc_lo
	s_cbranch_execz .LBB0_15
; %bb.1:
	v_mul_hi_u32 v2, 0x88888889, v36
	v_mul_lo_u16 v1, v1, 17
	s_clause 0x1
	s_load_dwordx2 s[6:7], s[4:5], 0x0
	s_load_dwordx2 s[12:13], s[4:5], 0x38
	v_sub_nc_u16 v0, v0, v1
	v_lshrrev_b32_e32 v1, 3, v2
	v_and_b32_e32 v78, 0xffff, v0
	v_cmp_gt_u16_e32 vcc_lo, 4, v0
	v_mul_lo_u32 v1, v1, 15
	v_lshlrev_b32_e32 v61, 3, v78
	v_or_b32_e32 v77, 4, v78
	v_or_b32_e32 v76, 8, v78
	;; [unrolled: 1-line block ×4, first 2 shown]
	v_sub_nc_u32_e32 v0, v36, v1
	v_or_b32_e32 v73, 20, v78
	v_or_b32_e32 v72, 24, v78
	;; [unrolled: 1-line block ×4, first 2 shown]
	v_mul_u32_u24_e32 v81, 0x44, v0
	v_or_b32_e32 v69, 36, v78
	v_or_b32_e32 v68, 40, v78
	;; [unrolled: 1-line block ×9, first 2 shown]
	v_lshlrev_b32_e32 v79, 3, v0
	s_and_saveexec_b32 s1, vcc_lo
	s_cbranch_execz .LBB0_3
; %bb.2:
	s_load_dwordx2 s[8:9], s[4:5], 0x18
	s_waitcnt lgkmcnt(0)
	s_load_dwordx4 s[8:11], s[8:9], 0x0
	s_clause 0x3
	global_load_dwordx2 v[0:1], v61, s[6:7]
	global_load_dwordx2 v[2:3], v61, s[6:7] offset:32
	global_load_dwordx2 v[4:5], v61, s[6:7] offset:64
	;; [unrolled: 1-line block ×3, first 2 shown]
	s_waitcnt lgkmcnt(0)
	v_mad_u64_u32 v[8:9], null, s10, v36, 0
	v_mad_u64_u32 v[10:11], null, s8, v78, 0
	;; [unrolled: 1-line block ×15, first 2 shown]
	v_mov_b32_e32 v9, v26
	v_mad_u64_u32 v[24:25], null, s8, v71, 0
	v_mov_b32_e32 v17, v30
	v_mov_b32_e32 v19, v31
	v_lshlrev_b64 v[8:9], 3, v[8:9]
	v_mov_b32_e32 v21, v32
	v_mov_b32_e32 v11, v27
	v_mad_u64_u32 v[26:27], null, s8, v70, 0
	v_mov_b32_e32 v13, v28
	v_add_co_u32 v60, s0, s2, v8
	v_add_co_ci_u32_e64 v80, s0, s3, v9, s0
	v_lshlrev_b64 v[8:9], 3, v[16:17]
	v_lshlrev_b64 v[16:17], 3, v[18:19]
	;; [unrolled: 1-line block ×3, first 2 shown]
	v_mad_u64_u32 v[20:21], null, s9, v72, v[23:24]
	v_mov_b32_e32 v15, v29
	v_mad_u64_u32 v[28:29], null, s8, v69, 0
	v_mov_b32_e32 v21, v25
	v_lshlrev_b64 v[10:11], 3, v[10:11]
	v_lshlrev_b64 v[12:13], 3, v[12:13]
	v_mov_b32_e32 v23, v20
	v_mad_u64_u32 v[30:31], null, s8, v68, 0
	v_mad_u64_u32 v[20:21], null, s9, v71, v[21:22]
	v_lshlrev_b64 v[22:23], 3, v[22:23]
	v_mov_b32_e32 v21, v27
	v_mov_b32_e32 v27, v29
	v_lshlrev_b64 v[14:15], 3, v[14:15]
	v_add_co_u32 v10, s0, v60, v10
	v_mad_u64_u32 v[32:33], null, s9, v70, v[21:22]
	v_add_co_ci_u32_e64 v11, s0, v80, v11, s0
	v_mad_u64_u32 v[33:34], null, s9, v69, v[27:28]
	v_add_co_u32 v12, s0, v60, v12
	v_add_co_ci_u32_e64 v13, s0, v80, v13, s0
	v_mov_b32_e32 v21, v31
	v_add_co_u32 v14, s0, v60, v14
	v_add_co_ci_u32_e64 v15, s0, v80, v15, s0
	v_add_co_u32 v8, s0, v60, v8
	v_mov_b32_e32 v25, v20
	v_mad_u64_u32 v[20:21], null, s9, v68, v[21:22]
	v_mov_b32_e32 v27, v32
	v_mov_b32_e32 v29, v33
	v_mad_u64_u32 v[32:33], null, s8, v67, 0
	v_add_co_ci_u32_e64 v9, s0, v80, v9, s0
	v_add_co_u32 v16, s0, v60, v16
	v_add_co_ci_u32_e64 v17, s0, v80, v17, s0
	v_add_co_u32 v18, s0, v60, v18
	;; [unrolled: 2-line block ×3, first 2 shown]
	v_mov_b32_e32 v31, v20
	v_mov_b32_e32 v20, v33
	s_clause 0x3
	global_load_dwordx2 v[10:11], v[10:11], off
	global_load_dwordx2 v[12:13], v[12:13], off
	;; [unrolled: 1-line block ×4, first 2 shown]
	v_add_co_ci_u32_e64 v22, s0, v80, v23, s0
	v_lshlrev_b64 v[23:24], 3, v[24:25]
	v_mad_u64_u32 v[33:34], null, s9, v67, v[20:21]
	s_clause 0x3
	global_load_dwordx2 v[34:35], v61, s[6:7] offset:128
	global_load_dwordx2 v[37:38], v61, s[6:7] offset:160
	;; [unrolled: 1-line block ×4, first 2 shown]
	v_mad_u64_u32 v[43:44], null, s8, v66, 0
	v_lshlrev_b64 v[25:26], 3, v[26:27]
	v_add_co_u32 v23, s0, v60, v23
	v_mad_u64_u32 v[45:46], null, s8, v65, 0
	v_add_co_ci_u32_e64 v24, s0, v80, v24, s0
	v_add_co_u32 v25, s0, v60, v25
	s_clause 0x3
	global_load_dwordx2 v[16:17], v[16:17], off
	global_load_dwordx2 v[18:19], v[18:19], off
	global_load_dwordx2 v[20:21], v[21:22], off
	global_load_dwordx2 v[22:23], v[23:24], off
	v_mov_b32_e32 v24, v44
	v_lshlrev_b64 v[27:28], 3, v[28:29]
	v_lshlrev_b64 v[29:30], 3, v[30:31]
	v_mad_u64_u32 v[50:51], null, s8, v63, 0
	v_mad_u64_u32 v[47:48], null, s9, v66, v[24:25]
	v_mov_b32_e32 v24, v46
	v_mad_u64_u32 v[48:49], null, s8, v64, 0
	v_add_co_ci_u32_e64 v26, s0, v80, v26, s0
	v_mad_u64_u32 v[82:83], null, s9, v65, v[24:25]
	v_add_co_u32 v27, s0, v60, v27
	v_lshlrev_b64 v[31:32], 3, v[32:33]
	v_add_co_ci_u32_e64 v28, s0, v80, v28, s0
	v_add_co_u32 v29, s0, v60, v29
	v_mov_b32_e32 v33, v49
	v_add_co_ci_u32_e64 v30, s0, v80, v30, s0
	v_mov_b32_e32 v24, v51
	v_mov_b32_e32 v44, v47
	v_add_co_u32 v31, s0, v60, v31
	v_mov_b32_e32 v46, v82
	v_add_co_ci_u32_e64 v32, s0, v80, v32, s0
	s_clause 0x3
	global_load_dwordx2 v[52:53], v61, s[6:7] offset:256
	global_load_dwordx2 v[54:55], v61, s[6:7] offset:288
	global_load_dwordx2 v[56:57], v61, s[6:7] offset:320
	global_load_dwordx2 v[58:59], v61, s[6:7] offset:352
	v_lshlrev_b64 v[45:46], 3, v[45:46]
	s_waitcnt vmcnt(15)
	v_mul_f32_e32 v92, v11, v1
	s_waitcnt vmcnt(14)
	v_mul_f32_e32 v95, v12, v3
	v_mul_f32_e32 v94, v13, v3
	s_waitcnt vmcnt(13)
	v_mul_f32_e32 v97, v14, v5
	s_waitcnt vmcnt(12)
	v_mul_f32_e32 v98, v8, v7
	v_mul_f32_e32 v3, v9, v7
	s_waitcnt vmcnt(11)
	v_mad_u64_u32 v[83:84], null, s9, v64, v[33:34]
	v_mad_u64_u32 v[84:85], null, s9, v63, v[24:25]
	s_clause 0x3
	global_load_dwordx2 v[24:25], v[25:26], off
	global_load_dwordx2 v[26:27], v[27:28], off
	;; [unrolled: 1-line block ×4, first 2 shown]
	v_lshlrev_b64 v[32:33], 3, v[43:44]
	v_mad_u64_u32 v[43:44], null, s8, v62, 0
	v_mov_b32_e32 v49, v83
	v_fmac_f32_e32 v92, v10, v0
	v_mov_b32_e32 v51, v84
	v_add_co_u32 v32, s0, v60, v32
	v_lshlrev_b64 v[47:48], 3, v[48:49]
	v_mad_u64_u32 v[82:83], null, s9, v62, v[44:45]
	v_add_co_ci_u32_e64 v33, s0, v80, v33, s0
	v_lshlrev_b64 v[49:50], 3, v[50:51]
	v_add_co_u32 v45, s0, v60, v45
	v_add_co_ci_u32_e64 v46, s0, v80, v46, s0
	v_mov_b32_e32 v44, v82
	v_add_co_u32 v47, s0, v60, v47
	v_add_co_ci_u32_e64 v48, s0, v80, v48, s0
	v_lshlrev_b64 v[43:44], 3, v[43:44]
	v_add_co_u32 v49, s0, v60, v49
	v_add_co_ci_u32_e64 v50, s0, v80, v50, s0
	s_clause 0x1
	global_load_dwordx2 v[32:33], v[32:33], off
	global_load_dwordx2 v[45:46], v[45:46], off
	s_clause 0x2
	global_load_dwordx2 v[82:83], v61, s[6:7] offset:384
	global_load_dwordx2 v[84:85], v61, s[6:7] offset:416
	;; [unrolled: 1-line block ×3, first 2 shown]
	v_add_co_u32 v43, s0, v60, v43
	v_add_co_ci_u32_e64 v44, s0, v80, v44, s0
	s_clause 0x1
	global_load_dwordx2 v[47:48], v[47:48], off
	global_load_dwordx2 v[49:50], v[49:50], off
	s_clause 0x1
	global_load_dwordx2 v[88:89], v61, s[6:7] offset:480
	global_load_dwordx2 v[90:91], v61, s[6:7] offset:512
	global_load_dwordx2 v[43:44], v[43:44], off
	v_mul_f32_e32 v60, v10, v1
	v_mul_f32_e32 v1, v15, v5
	s_waitcnt vmcnt(21)
	v_mul_f32_e32 v5, v17, v35
	v_mul_f32_e32 v35, v16, v35
	s_waitcnt vmcnt(20)
	;; [unrolled: 3-line block ×4, first 2 shown]
	v_mul_f32_e32 v101, v22, v42
	v_mul_f32_e32 v38, v23, v42
	v_fma_f32 v93, v11, v0, -v60
	v_lshl_add_u32 v80, v81, 3, v61
	v_fma_f32 v95, v13, v2, -v95
	v_fmac_f32_e32 v94, v12, v2
	v_fma_f32 v2, v15, v4, -v97
	v_fmac_f32_e32 v1, v14, v4
	;; [unrolled: 2-line block ×3, first 2 shown]
	v_fmac_f32_e32 v5, v16, v34
	v_fma_f32 v6, v17, v34, -v35
	v_fma_f32 v8, v19, v37, -v99
	v_fmac_f32_e32 v7, v18, v37
	v_fma_f32 v97, v21, v39, -v100
	v_fmac_f32_e32 v96, v20, v39
	;; [unrolled: 2-line block ×3, first 2 shown]
	s_waitcnt vmcnt(13)
	v_mul_f32_e32 v42, v24, v53
	v_mul_f32_e32 v40, v25, v53
	s_waitcnt vmcnt(12)
	v_mul_f32_e32 v51, v27, v55
	v_mul_f32_e32 v102, v26, v55
	;; [unrolled: 3-line block ×4, first 2 shown]
	v_fma_f32 v41, v25, v52, -v42
	v_fmac_f32_e32 v40, v24, v52
	v_fmac_f32_e32 v51, v26, v54
	v_fma_f32 v52, v27, v54, -v102
	v_fma_f32 v54, v29, v56, -v103
	v_fmac_f32_e32 v53, v28, v56
	v_fma_f32 v56, v31, v58, -v104
	v_fmac_f32_e32 v55, v30, v58
	s_waitcnt vmcnt(7)
	v_mul_f32_e32 v105, v32, v83
	v_mul_f32_e32 v57, v33, v83
	s_waitcnt vmcnt(6)
	v_mul_f32_e32 v106, v45, v85
	v_mul_f32_e32 v59, v46, v85
	;; [unrolled: 3-line block ×5, first 2 shown]
	v_fma_f32 v58, v33, v82, -v105
	v_fmac_f32_e32 v57, v32, v82
	v_fma_f32 v60, v46, v84, -v106
	v_fmac_f32_e32 v59, v45, v84
	;; [unrolled: 2-line block ×5, first 2 shown]
	ds_write_b64 v79, v[92:93]
	ds_write2_b64 v80, v[94:95], v[1:2] offset0:4 offset1:8
	ds_write2_b64 v80, v[3:4], v[5:6] offset0:12 offset1:16
	;; [unrolled: 1-line block ×8, first 2 shown]
.LBB0_3:
	s_or_b32 exec_lo, exec_lo, s1
	s_load_dwordx2 s[0:1], s[4:5], 0x20
	v_mov_b32_e32 v51, 0
	v_mov_b32_e32 v52, 0
	v_lshlrev_b32_e32 v80, 3, v81
	s_waitcnt lgkmcnt(0)
	s_barrier
	buffer_gl0_inv
                                        ; implicit-def: $vgpr19
                                        ; implicit-def: $vgpr13
                                        ; implicit-def: $vgpr7
                                        ; implicit-def: $vgpr11
                                        ; implicit-def: $vgpr23
                                        ; implicit-def: $vgpr27
                                        ; implicit-def: $vgpr30
                                        ; implicit-def: $vgpr34
	s_and_saveexec_b32 s2, vcc_lo
	s_cbranch_execz .LBB0_5
; %bb.4:
	v_lshl_add_u32 v0, v78, 3, v80
	ds_read_b64 v[51:52], v79
	ds_read2_b64 v[32:35], v0 offset0:4 offset1:8
	ds_read2_b64 v[28:31], v0 offset0:12 offset1:16
	;; [unrolled: 1-line block ×8, first 2 shown]
.LBB0_5:
	s_or_b32 exec_lo, exec_lo, s2
	s_waitcnt lgkmcnt(0)
	v_sub_f32_e32 v54, v33, v7
	v_sub_f32_e32 v53, v32, v6
	v_add_f32_e32 v89, v6, v32
	v_sub_f32_e32 v58, v35, v5
	v_add_f32_e32 v90, v7, v33
	v_mul_f32_e32 v83, 0xbeb8f4ab, v54
	v_mul_f32_e32 v84, 0xbeb8f4ab, v53
	v_add_f32_e32 v93, v4, v34
	v_sub_f32_e32 v57, v34, v4
	v_mul_f32_e32 v85, 0xbf2c7751, v58
	v_fmamk_f32 v0, v89, 0x3f6eb680, v83
	v_sub_f32_e32 v60, v29, v11
	v_fma_f32 v1, 0x3f6eb680, v90, -v84
	v_add_f32_e32 v94, v5, v35
	v_mul_f32_e32 v86, 0xbf2c7751, v57
	v_add_f32_e32 v0, v0, v51
	v_fmamk_f32 v2, v93, 0x3f3d2fb0, v85
	v_sub_f32_e32 v59, v28, v10
	v_add_f32_e32 v97, v10, v28
	v_mul_f32_e32 v87, 0xbf65296c, v60
	v_sub_f32_e32 v111, v31, v9
	v_add_f32_e32 v1, v1, v52
	v_fma_f32 v3, 0x3f3d2fb0, v94, -v86
	v_add_f32_e32 v0, v2, v0
	v_add_f32_e32 v98, v11, v29
	v_mul_f32_e32 v88, 0xbf65296c, v59
	v_fmamk_f32 v2, v97, 0x3ee437d1, v87
	v_sub_f32_e32 v82, v30, v8
	v_add_f32_e32 v101, v8, v30
	v_mul_f32_e32 v91, 0xbf7ee86f, v111
	v_sub_f32_e32 v117, v17, v23
	v_add_f32_e32 v1, v3, v1
	v_fma_f32 v3, 0x3ee437d1, v98, -v88
	v_add_f32_e32 v102, v9, v31
	v_mul_f32_e32 v92, 0xbf7ee86f, v82
	v_add_f32_e32 v0, v2, v0
	v_fmamk_f32 v2, v101, 0x3dbcf732, v91
	v_sub_f32_e32 v116, v16, v22
	v_add_f32_e32 v105, v22, v16
	v_mul_f32_e32 v95, 0xbf763a35, v117
	v_add_f32_e32 v126, v18, v20
	v_add_f32_e32 v1, v3, v1
	v_fma_f32 v3, 0x3dbcf732, v102, -v92
	v_add_f32_e32 v0, v2, v0
	v_add_f32_e32 v106, v23, v17
	v_mul_f32_e32 v96, 0xbf763a35, v116
	v_fmamk_f32 v2, v105, 0xbe8c1d8e, v95
	v_sub_f32_e32 v124, v18, v20
	v_sub_f32_e32 v110, v19, v21
	v_mul_f32_e32 v99, 0xbf1a4643, v126
	v_add_f32_e32 v137, v12, v26
	v_add_f32_e32 v1, v3, v1
	v_fma_f32 v3, 0xbe8c1d8e, v106, -v96
	v_add_f32_e32 v109, v19, v21
	v_mul_f32_e32 v100, 0xbf4c4adb, v124
	v_add_f32_e32 v0, v2, v0
	v_fmamk_f32 v2, v110, 0xbf4c4adb, v99
	v_sub_f32_e32 v136, v12, v26
	v_sub_f32_e32 v114, v13, v27
	v_mul_f32_e32 v103, 0xbf59a7d5, v137
	v_add_f32_e32 v1, v3, v1
	v_fma_f32 v3, 0xbf1a4643, v109, -v100
	v_add_f32_e32 v115, v13, v27
	v_mul_f32_e32 v104, 0xbf06c442, v136
	v_add_f32_e32 v0, v2, v0
	v_fmamk_f32 v2, v114, 0xbf06c442, v103
	v_mul_f32_e32 v119, 0xbf2c7751, v54
	v_add_f32_e32 v1, v3, v1
	v_fma_f32 v3, 0xbf59a7d5, v115, -v104
	v_mul_f32_e32 v120, 0xbf7ee86f, v58
	v_add_f32_e32 v0, v2, v0
	v_fmamk_f32 v2, v89, 0x3f3d2fb0, v119
	v_mul_f32_e32 v129, 0xbf2c7751, v53
	v_add_f32_e32 v1, v3, v1
	v_fmamk_f32 v3, v93, 0x3dbcf732, v120
	v_mul_f32_e32 v131, 0xbf7ee86f, v57
	v_add_f32_e32 v2, v2, v51
	v_fma_f32 v37, 0x3f3d2fb0, v90, -v129
	v_mul_f32_e32 v122, 0xbf4c4adb, v60
	v_add_f32_e32 v149, v14, v24
	v_mul_f32_e32 v127, 0xbf4c4adb, v59
	v_add_f32_e32 v2, v3, v2
	v_add_f32_e32 v3, v37, v52
	v_fma_f32 v37, 0x3dbcf732, v94, -v131
	v_fmamk_f32 v38, v97, 0xbf1a4643, v122
	v_mul_f32_e32 v123, 0xbe3c28d5, v111
	v_sub_f32_e32 v150, v14, v24
	v_sub_f32_e32 v134, v15, v25
	v_mul_f32_e32 v107, 0xbf7ba420, v149
	v_add_f32_e32 v3, v37, v3
	v_add_f32_e32 v2, v38, v2
	v_fma_f32 v37, 0xbf1a4643, v98, -v127
	v_fmamk_f32 v38, v101, 0xbf7ba420, v123
	v_mul_f32_e32 v128, 0xbe3c28d5, v82
	v_mul_f32_e32 v125, 0x3f06c442, v117
	v_add_f32_e32 v133, v15, v25
	v_mul_f32_e32 v108, 0xbe3c28d5, v150
	v_fmamk_f32 v39, v134, 0xbe3c28d5, v107
	v_add_f32_e32 v3, v37, v3
	v_add_f32_e32 v37, v38, v2
	v_fma_f32 v38, 0xbf7ba420, v102, -v128
	v_fmamk_f32 v41, v105, 0xbf59a7d5, v125
	v_mul_f32_e32 v130, 0x3f06c442, v116
	v_mul_f32_e32 v112, 0xbe8c1d8e, v126
	v_fma_f32 v40, 0xbf7ba420, v133, -v108
	v_add_f32_e32 v2, v39, v0
	v_add_f32_e32 v0, v38, v3
	;; [unrolled: 1-line block ×3, first 2 shown]
	v_fma_f32 v38, 0xbf59a7d5, v106, -v130
	v_mul_f32_e32 v132, 0x3f763a35, v124
	v_fmamk_f32 v39, v110, 0x3f763a35, v112
	v_mul_f32_e32 v113, 0x3ee437d1, v137
	v_add_f32_e32 v3, v40, v1
	v_add_f32_e32 v0, v38, v0
	v_fma_f32 v1, 0xbe8c1d8e, v109, -v132
	v_add_f32_e32 v37, v39, v37
	v_fmamk_f32 v38, v114, 0x3f65296c, v113
	v_mul_f32_e32 v118, 0x3f65296c, v136
	v_mul_f32_e32 v140, 0xbf65296c, v54
	;; [unrolled: 1-line block ×3, first 2 shown]
	v_add_f32_e32 v0, v1, v0
	v_add_f32_e32 v1, v38, v37
	v_fma_f32 v37, 0x3ee437d1, v115, -v118
	v_fmamk_f32 v38, v89, 0x3ee437d1, v140
	v_mul_f32_e32 v143, 0xbf4c4adb, v58
	v_fma_f32 v39, 0x3ee437d1, v90, -v146
	v_mul_f32_e32 v147, 0xbf4c4adb, v57
	v_add_f32_e32 v37, v37, v0
	v_add_f32_e32 v0, v38, v51
	v_fmamk_f32 v38, v93, 0xbf1a4643, v143
	v_add_f32_e32 v39, v39, v52
	v_fma_f32 v40, 0xbf1a4643, v94, -v147
	v_mul_f32_e32 v144, 0x3e3c28d5, v60
	v_mul_f32_e32 v148, 0x3e3c28d5, v59
	;; [unrolled: 1-line block ×3, first 2 shown]
	v_add_f32_e32 v0, v38, v0
	v_add_f32_e32 v38, v40, v39
	v_fmamk_f32 v39, v97, 0xbf7ba420, v144
	v_fma_f32 v40, 0xbf7ba420, v98, -v148
	v_mul_f32_e32 v142, 0x3f763a35, v111
	v_mul_f32_e32 v151, 0x3f763a35, v82
	v_fmamk_f32 v41, v134, 0x3eb8f4ab, v121
	v_add_f32_e32 v39, v39, v0
	v_add_f32_e32 v38, v40, v38
	v_fmamk_f32 v40, v101, 0xbe8c1d8e, v142
	v_fma_f32 v42, 0xbe8c1d8e, v102, -v151
	v_mul_f32_e32 v138, 0x3f2c7751, v117
	v_mul_f32_e32 v153, 0x3f2c7751, v116
	v_add_f32_e32 v0, v41, v1
	v_add_f32_e32 v1, v40, v39
	;; [unrolled: 1-line block ×3, first 2 shown]
	v_fmamk_f32 v39, v105, 0x3f3d2fb0, v138
	v_fma_f32 v40, 0x3f3d2fb0, v106, -v153
	v_mul_f32_e32 v139, 0x3f6eb680, v126
	v_mul_f32_e32 v152, 0xbeb8f4ab, v124
	;; [unrolled: 1-line block ×3, first 2 shown]
	v_add_f32_e32 v1, v39, v1
	v_add_f32_e32 v38, v40, v38
	v_fmamk_f32 v39, v110, 0xbeb8f4ab, v139
	v_fma_f32 v40, 0x3f6eb680, v109, -v152
	v_mul_f32_e32 v141, 0x3dbcf732, v137
	v_mul_f32_e32 v154, 0xbf7ee86f, v136
	v_fma_f32 v41, 0x3f6eb680, v133, -v135
	v_add_f32_e32 v39, v39, v1
	v_add_f32_e32 v38, v40, v38
	v_fmamk_f32 v40, v114, 0xbf7ee86f, v141
	v_mul_f32_e32 v43, 0xbf7ee86f, v54
	v_fma_f32 v42, 0x3dbcf732, v115, -v154
	v_add_f32_e32 v1, v41, v37
	v_mul_f32_e32 v41, 0xbf7ee86f, v53
	v_add_f32_e32 v37, v40, v39
	v_fma_f32 v39, 0x3dbcf732, v89, -v43
	v_mul_f32_e32 v40, 0xbe3c28d5, v58
	v_add_f32_e32 v38, v42, v38
	v_fmamk_f32 v42, v90, 0x3dbcf732, v41
	v_mul_f32_e32 v44, 0xbe3c28d5, v57
	v_add_f32_e32 v39, v39, v51
	v_fma_f32 v45, 0xbf7ba420, v93, -v40
	v_mul_f32_e32 v47, 0x3f763a35, v60
	v_add_f32_e32 v42, v42, v52
	v_fmamk_f32 v46, v94, 0xbf7ba420, v44
	;; [unrolled: 6-line block ×3, first 2 shown]
	v_mul_f32_e32 v55, 0x3eb8f4ab, v82
	v_add_f32_e32 v39, v45, v39
	v_fma_f32 v45, 0x3f6eb680, v101, -v50
	v_mul_f32_e32 v56, 0xbf65296c, v117
	v_mul_f32_e32 v145, 0xbf59a7d5, v149
	v_add_f32_e32 v42, v46, v42
	v_fmamk_f32 v46, v102, 0x3f6eb680, v55
	v_mul_f32_e32 v156, 0xbf65296c, v116
	v_add_f32_e32 v39, v45, v39
	v_fma_f32 v45, 0x3ee437d1, v105, -v56
	v_fmac_f32_e32 v43, 0x3dbcf732, v89
	v_fmamk_f32 v49, v134, 0xbf06c442, v145
	v_mul_f32_e32 v155, 0xbf06c442, v150
	v_add_f32_e32 v42, v46, v42
	v_fmamk_f32 v46, v106, 0x3ee437d1, v156
	v_add_f32_e32 v39, v45, v39
	v_mul_f32_e32 v45, 0xbf59a7d5, v126
	v_add_f32_e32 v43, v43, v51
	v_fmac_f32_e32 v40, 0xbf7ba420, v93
	v_fma_f32 v41, 0x3dbcf732, v90, -v41
	v_fma_f32 v157, 0xbf59a7d5, v133, -v155
	v_add_f32_e32 v37, v49, v37
	v_add_f32_e32 v42, v46, v42
	v_mul_f32_e32 v46, 0xbf06c442, v124
	v_fmamk_f32 v49, v110, 0x3f06c442, v45
	v_mul_f32_e32 v158, 0xbf1a4643, v137
	v_add_f32_e32 v40, v40, v43
	v_add_f32_e32 v41, v41, v52
	v_fma_f32 v43, 0xbf7ba420, v94, -v44
	v_fmac_f32_e32 v47, 0xbe8c1d8e, v97
	v_add_f32_e32 v38, v157, v38
	v_fmamk_f32 v157, v109, 0xbf59a7d5, v46
	v_add_f32_e32 v39, v49, v39
	v_fmamk_f32 v44, v114, 0xbf4c4adb, v158
	v_add_f32_e32 v41, v43, v41
	v_add_f32_e32 v40, v47, v40
	v_fma_f32 v43, 0xbe8c1d8e, v98, -v48
	v_fmac_f32_e32 v50, 0x3f6eb680, v101
	v_mul_f32_e32 v47, 0x3f4c4adb, v136
	v_mul_f32_e32 v48, 0x3f3d2fb0, v149
	v_add_f32_e32 v42, v157, v42
	v_add_f32_e32 v39, v44, v39
	;; [unrolled: 1-line block ×4, first 2 shown]
	v_fma_f32 v43, 0x3f6eb680, v102, -v55
	v_fmac_f32_e32 v56, 0x3ee437d1, v105
	v_fmamk_f32 v44, v115, 0xbf1a4643, v47
	v_fmamk_f32 v49, v134, 0xbf2c7751, v48
	v_mul_f32_e32 v50, 0x3f2c7751, v150
	v_add_f32_e32 v41, v43, v41
	v_add_f32_e32 v40, v56, v40
	v_fma_f32 v55, 0x3ee437d1, v106, -v156
	v_fmac_f32_e32 v45, 0xbf06c442, v110
	v_add_f32_e32 v42, v44, v42
	v_add_f32_e32 v43, v49, v39
	v_fmamk_f32 v39, v133, 0x3f3d2fb0, v50
	v_add_f32_e32 v41, v55, v41
	v_add_f32_e32 v40, v45, v40
	v_fma_f32 v45, 0xbf59a7d5, v109, -v46
	v_mul_f32_e32 v46, 0xbf763a35, v54
	v_add_f32_e32 v44, v39, v42
	v_mul_f32_e32 v42, 0xbf763a35, v53
	v_fmac_f32_e32 v158, 0x3f4c4adb, v114
	v_add_f32_e32 v39, v45, v41
	v_fma_f32 v41, 0xbe8c1d8e, v89, -v46
	v_mul_f32_e32 v45, 0x3f06c442, v58
	v_fmamk_f32 v49, v90, 0xbe8c1d8e, v42
	v_mul_f32_e32 v55, 0x3f06c442, v57
	v_add_f32_e32 v40, v158, v40
	v_fma_f32 v47, 0xbf1a4643, v115, -v47
	v_add_f32_e32 v41, v41, v51
	v_fma_f32 v56, 0xbf59a7d5, v93, -v45
	v_add_f32_e32 v49, v49, v52
	v_fmamk_f32 v156, v94, 0xbf59a7d5, v55
	v_mul_f32_e32 v157, 0x3f2c7751, v60
	v_mul_f32_e32 v158, 0x3f2c7751, v59
	v_add_f32_e32 v47, v47, v39
	v_add_f32_e32 v39, v56, v41
	v_add_f32_e32 v41, v156, v49
	v_fma_f32 v49, 0x3f3d2fb0, v97, -v157
	v_fmamk_f32 v56, v98, 0x3f3d2fb0, v158
	v_mul_f32_e32 v156, 0xbf65296c, v111
	v_mul_f32_e32 v159, 0xbf65296c, v82
	v_fmac_f32_e32 v48, 0x3f2c7751, v134
	v_add_f32_e32 v39, v49, v39
	v_add_f32_e32 v41, v56, v41
	v_fma_f32 v49, 0x3ee437d1, v101, -v156
	v_fmamk_f32 v56, v102, 0x3ee437d1, v159
	v_mul_f32_e32 v160, 0xbe3c28d5, v117
	v_mul_f32_e32 v161, 0xbe3c28d5, v116
	v_fma_f32 v50, 0x3f3d2fb0, v133, -v50
	v_add_f32_e32 v49, v49, v39
	v_add_f32_e32 v41, v56, v41
	v_fma_f32 v56, 0xbf7ba420, v105, -v160
	v_fmamk_f32 v162, v106, 0xbf7ba420, v161
	v_add_f32_e32 v39, v48, v40
	v_fmac_f32_e32 v46, 0xbe8c1d8e, v89
	v_mul_f32_e32 v48, 0x3dbcf732, v126
	v_add_f32_e32 v40, v50, v47
	v_add_f32_e32 v47, v56, v49
	;; [unrolled: 1-line block ×4, first 2 shown]
	v_fmac_f32_e32 v45, 0xbf59a7d5, v93
	v_fma_f32 v42, 0xbe8c1d8e, v90, -v42
	v_fmamk_f32 v50, v110, 0xbf7ee86f, v48
	v_mul_f32_e32 v162, 0x3f6eb680, v137
	v_mul_f32_e32 v49, 0x3f7ee86f, v124
	v_add_f32_e32 v45, v45, v46
	v_add_f32_e32 v42, v42, v52
	v_fma_f32 v46, 0xbf59a7d5, v94, -v55
	v_fmac_f32_e32 v157, 0x3f3d2fb0, v97
	v_add_f32_e32 v47, v50, v47
	v_fmamk_f32 v50, v114, 0x3eb8f4ab, v162
	v_fmamk_f32 v56, v109, 0x3dbcf732, v49
	v_add_f32_e32 v42, v46, v42
	v_add_f32_e32 v45, v157, v45
	v_fma_f32 v46, 0x3f3d2fb0, v98, -v158
	v_fmac_f32_e32 v156, 0x3ee437d1, v101
	v_add_f32_e32 v47, v50, v47
	v_mul_f32_e32 v50, 0xbeb8f4ab, v136
	v_mul_f32_e32 v55, 0xbf1a4643, v149
	v_add_f32_e32 v41, v56, v41
	v_add_f32_e32 v42, v46, v42
	;; [unrolled: 1-line block ×3, first 2 shown]
	v_fma_f32 v46, 0x3ee437d1, v102, -v159
	v_fmac_f32_e32 v160, 0xbf7ba420, v105
	v_fmamk_f32 v56, v115, 0x3f6eb680, v50
	v_fmamk_f32 v156, v134, 0x3f4c4adb, v55
	v_mul_f32_e32 v157, 0xbf4c4adb, v150
	v_add_f32_e32 v42, v46, v42
	v_add_f32_e32 v46, v160, v45
	v_fma_f32 v158, 0xbf7ba420, v106, -v161
	v_fmac_f32_e32 v48, 0x3f7ee86f, v110
	v_add_f32_e32 v41, v56, v41
	v_add_f32_e32 v45, v156, v47
	v_fmamk_f32 v47, v133, 0xbf1a4643, v157
	v_add_f32_e32 v42, v158, v42
	v_add_f32_e32 v48, v48, v46
	v_fma_f32 v49, 0x3dbcf732, v109, -v49
	v_fmac_f32_e32 v162, 0xbeb8f4ab, v114
	v_mul_f32_e32 v56, 0xbf4c4adb, v54
	v_add_f32_e32 v46, v47, v41
	v_mul_f32_e32 v47, 0xbf4c4adb, v53
	v_add_f32_e32 v41, v49, v42
	v_add_f32_e32 v42, v162, v48
	v_fma_f32 v48, 0xbf1a4643, v89, -v56
	v_mul_f32_e32 v49, 0x3f763a35, v58
	v_fmamk_f32 v156, v90, 0xbf1a4643, v47
	v_mul_f32_e32 v158, 0x3f763a35, v57
	v_fma_f32 v50, 0x3f6eb680, v115, -v50
	v_add_f32_e32 v48, v48, v51
	v_fma_f32 v159, 0xbe8c1d8e, v93, -v49
	v_add_f32_e32 v156, v156, v52
	v_fmamk_f32 v160, v94, 0xbe8c1d8e, v158
	v_mul_f32_e32 v161, 0xbeb8f4ab, v60
	v_mul_f32_e32 v162, 0xbeb8f4ab, v59
	v_add_f32_e32 v50, v50, v41
	v_add_f32_e32 v41, v159, v48
	;; [unrolled: 1-line block ×3, first 2 shown]
	v_fma_f32 v156, 0x3f6eb680, v97, -v161
	v_fmamk_f32 v159, v98, 0x3f6eb680, v162
	v_mul_f32_e32 v160, 0xbf06c442, v111
	v_mul_f32_e32 v163, 0xbf06c442, v82
	v_fmac_f32_e32 v55, 0xbf4c4adb, v134
	v_add_f32_e32 v41, v156, v41
	v_add_f32_e32 v48, v159, v48
	v_fma_f32 v156, 0xbf59a7d5, v101, -v160
	v_fmamk_f32 v159, v102, 0xbf59a7d5, v163
	v_mul_f32_e32 v164, 0x3f7ee86f, v117
	v_mul_f32_e32 v165, 0x3f7ee86f, v116
	v_fmac_f32_e32 v56, 0xbf1a4643, v89
	v_fma_f32 v157, 0xbf1a4643, v133, -v157
	v_add_f32_e32 v156, v156, v41
	v_add_f32_e32 v48, v159, v48
	v_fma_f32 v159, 0x3dbcf732, v105, -v164
	v_fmamk_f32 v166, v106, 0x3dbcf732, v165
	v_add_f32_e32 v41, v55, v42
	v_mul_f32_e32 v55, 0x3f3d2fb0, v126
	v_add_f32_e32 v56, v56, v51
	v_fmac_f32_e32 v49, 0xbe8c1d8e, v93
	v_fma_f32 v47, 0xbf1a4643, v90, -v47
	v_add_f32_e32 v42, v157, v50
	v_add_f32_e32 v50, v159, v156
	;; [unrolled: 1-line block ×3, first 2 shown]
	v_fmamk_f32 v157, v110, 0x3f2c7751, v55
	v_mul_f32_e32 v166, 0xbf7ba420, v137
	v_add_f32_e32 v49, v49, v56
	v_add_f32_e32 v47, v47, v52
	v_fma_f32 v56, 0xbe8c1d8e, v94, -v158
	v_fmac_f32_e32 v161, 0x3f6eb680, v97
	v_mul_f32_e32 v156, 0xbf2c7751, v124
	v_add_f32_e32 v50, v157, v50
	v_fmamk_f32 v157, v114, 0x3e3c28d5, v166
	v_add_f32_e32 v47, v56, v47
	v_add_f32_e32 v49, v161, v49
	v_fma_f32 v56, 0x3f6eb680, v98, -v162
	v_fmac_f32_e32 v160, 0xbf59a7d5, v101
	v_fmamk_f32 v159, v109, 0x3f3d2fb0, v156
	v_add_f32_e32 v50, v157, v50
	v_mul_f32_e32 v157, 0xbe3c28d5, v136
	v_mul_f32_e32 v158, 0x3ee437d1, v149
	v_add_f32_e32 v47, v56, v47
	v_add_f32_e32 v49, v160, v49
	v_fma_f32 v56, 0xbf59a7d5, v102, -v163
	v_fmac_f32_e32 v164, 0x3dbcf732, v105
	v_add_f32_e32 v48, v159, v48
	v_fmamk_f32 v159, v115, 0xbf7ba420, v157
	v_fmamk_f32 v160, v134, 0xbf65296c, v158
	v_mul_f32_e32 v161, 0x3f65296c, v150
	v_add_f32_e32 v47, v56, v47
	v_add_f32_e32 v56, v164, v49
	v_fma_f32 v162, 0x3dbcf732, v106, -v165
	v_fmac_f32_e32 v55, 0xbf2c7751, v110
	v_add_f32_e32 v48, v159, v48
	v_add_f32_e32 v49, v160, v50
	v_fmamk_f32 v50, v133, 0x3ee437d1, v161
	v_add_f32_e32 v47, v162, v47
	v_add_f32_e32 v55, v55, v56
	v_fma_f32 v56, 0x3f3d2fb0, v109, -v156
	v_fmac_f32_e32 v166, 0xbe3c28d5, v114
	v_mul_f32_e32 v156, 0xbf06c442, v54
	v_mul_f32_e32 v159, 0xbf06c442, v53
	v_add_f32_e32 v50, v50, v48
	v_add_f32_e32 v47, v56, v47
	;; [unrolled: 1-line block ×3, first 2 shown]
	v_fma_f32 v55, 0xbf59a7d5, v89, -v156
	v_mul_f32_e32 v56, 0x3f65296c, v58
	v_fmamk_f32 v160, v90, 0xbf59a7d5, v159
	v_mul_f32_e32 v162, 0x3f65296c, v57
	v_fma_f32 v157, 0xbf7ba420, v115, -v157
	v_add_f32_e32 v55, v55, v51
	v_fma_f32 v163, 0x3ee437d1, v93, -v56
	v_add_f32_e32 v160, v160, v52
	v_fmamk_f32 v164, v94, 0x3ee437d1, v162
	v_mul_f32_e32 v165, 0xbf7ee86f, v60
	v_mul_f32_e32 v166, 0xbf7ee86f, v59
	v_add_f32_e32 v157, v157, v47
	v_add_f32_e32 v47, v163, v55
	;; [unrolled: 1-line block ×3, first 2 shown]
	v_fma_f32 v160, 0x3dbcf732, v97, -v165
	v_fmamk_f32 v163, v98, 0x3dbcf732, v166
	v_mul_f32_e32 v164, 0x3f4c4adb, v111
	v_mul_f32_e32 v167, 0x3f4c4adb, v82
	;; [unrolled: 1-line block ×3, first 2 shown]
	v_add_f32_e32 v47, v160, v47
	v_add_f32_e32 v55, v163, v55
	v_fma_f32 v160, 0xbf1a4643, v101, -v164
	v_fmamk_f32 v163, v102, 0xbf1a4643, v167
	v_fmac_f32_e32 v158, 0x3f65296c, v134
	v_fma_f32 v161, 0x3ee437d1, v133, -v161
	v_mul_f32_e32 v169, 0xbeb8f4ab, v116
	v_add_f32_e32 v160, v160, v47
	v_add_f32_e32 v55, v163, v55
	v_fma_f32 v163, 0x3f6eb680, v105, -v168
	v_mul_f32_e32 v170, 0xbf7ba420, v126
	v_fmamk_f32 v171, v106, 0x3f6eb680, v169
	v_mul_f32_e32 v172, 0xbe3c28d5, v124
	v_add_f32_e32 v47, v158, v48
	v_add_f32_e32 v158, v163, v160
	v_fmamk_f32 v160, v110, 0x3e3c28d5, v170
	v_add_f32_e32 v48, v161, v157
	v_mul_f32_e32 v157, 0x3f3d2fb0, v137
	v_fmac_f32_e32 v156, 0xbf59a7d5, v89
	v_add_f32_e32 v55, v171, v55
	v_fmamk_f32 v163, v109, 0xbf7ba420, v172
	v_add_f32_e32 v158, v160, v158
	v_fma_f32 v159, 0xbf59a7d5, v90, -v159
	v_fmamk_f32 v160, v114, 0xbf2c7751, v157
	v_mul_f32_e32 v161, 0x3f2c7751, v136
	v_add_f32_e32 v156, v156, v51
	v_fmac_f32_e32 v56, 0x3ee437d1, v93
	v_add_f32_e32 v55, v163, v55
	v_add_f32_e32 v159, v159, v52
	v_fma_f32 v162, 0x3ee437d1, v94, -v162
	v_add_f32_e32 v158, v160, v158
	v_fmamk_f32 v160, v115, 0x3f3d2fb0, v161
	v_add_f32_e32 v56, v56, v156
	v_fmac_f32_e32 v165, 0x3dbcf732, v97
	v_add_f32_e32 v156, v162, v159
	v_fma_f32 v159, 0x3dbcf732, v98, -v166
	v_add_f32_e32 v160, v160, v55
	v_mul_f32_e32 v162, 0xbe8c1d8e, v149
	v_add_f32_e32 v55, v165, v56
	v_fmac_f32_e32 v164, 0xbf1a4643, v101
	v_add_f32_e32 v56, v159, v156
	v_fma_f32 v156, 0xbf1a4643, v102, -v167
	v_fmamk_f32 v159, v134, 0x3f763a35, v162
	v_mul_f32_e32 v163, 0xbf763a35, v150
	v_add_f32_e32 v164, v164, v55
	v_fmac_f32_e32 v168, 0x3f6eb680, v105
	v_add_f32_e32 v56, v156, v56
	v_fma_f32 v156, 0x3f6eb680, v106, -v169
	v_add_f32_e32 v55, v159, v158
	v_fmamk_f32 v158, v133, 0xbe8c1d8e, v163
	v_add_f32_e32 v159, v168, v164
	v_fmac_f32_e32 v170, 0xbe3c28d5, v110
	v_mul_f32_e32 v54, 0xbe3c28d5, v54
	v_add_f32_e32 v156, v156, v56
	v_fma_f32 v164, 0xbf7ba420, v109, -v172
	v_add_f32_e32 v56, v158, v160
	v_add_f32_e32 v158, v170, v159
	v_fmac_f32_e32 v157, 0x3f2c7751, v114
	v_fma_f32 v159, 0xbf7ba420, v89, -v54
	v_mul_f32_e32 v58, 0x3eb8f4ab, v58
	v_mul_f32_e32 v160, 0xbe3c28d5, v53
	v_add_f32_e32 v156, v164, v156
	v_add_f32_e32 v53, v157, v158
	v_fma_f32 v157, 0x3f3d2fb0, v115, -v161
	v_add_f32_e32 v158, v159, v51
	v_fma_f32 v159, 0x3f6eb680, v93, -v58
	v_fmamk_f32 v161, v90, 0xbf7ba420, v160
	v_mul_f32_e32 v57, 0x3eb8f4ab, v57
	v_add_f32_e32 v156, v157, v156
	v_mul_f32_e32 v59, 0xbf06c442, v59
	v_add_f32_e32 v157, v159, v158
	v_add_f32_e32 v158, v161, v52
	v_fmamk_f32 v159, v94, 0x3f6eb680, v57
	v_mul_f32_e32 v82, 0x3f2c7751, v82
	v_mul_f32_e32 v60, 0xbf06c442, v60
	;; [unrolled: 1-line block ×3, first 2 shown]
	v_fmac_f32_e32 v54, 0xbf7ba420, v89
	v_add_f32_e32 v158, v159, v158
	v_fmamk_f32 v159, v98, 0xbf59a7d5, v59
	v_fma_f32 v161, 0xbf59a7d5, v97, -v60
	v_mul_f32_e32 v117, 0xbf4c4adb, v117
	v_add_f32_e32 v54, v54, v51
	v_fmac_f32_e32 v58, 0x3f6eb680, v93
	v_add_f32_e32 v158, v159, v158
	v_fmamk_f32 v159, v102, 0x3f3d2fb0, v82
	v_add_f32_e32 v157, v161, v157
	v_fma_f32 v161, 0x3f3d2fb0, v101, -v111
	v_fma_f32 v57, 0x3f6eb680, v94, -v57
	v_mul_f32_e32 v126, 0x3ee437d1, v126
	v_add_f32_e32 v158, v159, v158
	v_fma_f32 v159, 0xbf7ba420, v90, -v160
	v_add_f32_e32 v157, v161, v157
	v_fma_f32 v160, 0xbf1a4643, v105, -v117
	v_add_f32_e32 v54, v58, v54
	v_fmac_f32_e32 v60, 0xbf59a7d5, v97
	v_add_f32_e32 v159, v159, v52
	v_fma_f32 v58, 0xbf59a7d5, v98, -v59
	v_mul_f32_e32 v116, 0xbf4c4adb, v116
	v_add_f32_e32 v157, v160, v157
	v_fmamk_f32 v59, v110, 0xbf65296c, v126
	v_add_f32_e32 v57, v57, v159
	v_mul_f32_e32 v137, 0xbe8c1d8e, v137
	v_add_f32_e32 v54, v60, v54
	v_fmac_f32_e32 v111, 0x3f3d2fb0, v101
	v_fmamk_f32 v161, v106, 0xbf1a4643, v116
	v_add_f32_e32 v57, v58, v57
	v_fma_f32 v58, 0x3f3d2fb0, v102, -v82
	v_mul_f32_e32 v124, 0x3f65296c, v124
	v_add_f32_e32 v59, v59, v157
	v_fmamk_f32 v82, v114, 0x3f763a35, v137
	v_add_f32_e32 v54, v111, v54
	v_add_f32_e32 v57, v58, v57
	v_fmac_f32_e32 v117, 0xbf1a4643, v105
	v_fma_f32 v58, 0xbf1a4643, v106, -v116
	v_add_f32_e32 v158, v161, v158
	v_fmamk_f32 v60, v109, 0x3ee437d1, v124
	v_add_f32_e32 v59, v82, v59
	v_mul_f32_e32 v82, 0xbf763a35, v136
	v_add_f32_e32 v54, v117, v54
	v_add_f32_e32 v57, v58, v57
	v_fmac_f32_e32 v126, 0x3f65296c, v110
	v_fma_f32 v58, 0x3ee437d1, v109, -v124
	s_load_dwordx2 s[2:3], s[4:5], 0x8
	v_add_f32_e32 v60, v60, v158
	v_fmamk_f32 v111, v115, 0xbe8c1d8e, v82
	v_mul_f32_e32 v116, 0x3dbcf732, v149
	v_mul_f32_e32 v117, 0x3f7ee86f, v150
	v_add_f32_e32 v54, v126, v54
	v_add_f32_e32 v57, v58, v57
	v_fmac_f32_e32 v137, 0xbf763a35, v114
	v_fma_f32 v58, 0xbe8c1d8e, v115, -v82
	v_fmac_f32_e32 v162, 0xbf763a35, v134
	v_fma_f32 v163, 0xbe8c1d8e, v133, -v163
	v_add_f32_e32 v60, v111, v60
	v_fmamk_f32 v82, v134, 0xbf7ee86f, v116
	v_fmamk_f32 v111, v133, 0x3dbcf732, v117
	v_add_f32_e32 v124, v137, v54
	v_add_f32_e32 v58, v58, v57
	v_fmac_f32_e32 v116, 0x3f7ee86f, v134
	v_fma_f32 v117, 0x3dbcf732, v133, -v117
	v_add_f32_e32 v53, v162, v53
	v_add_f32_e32 v54, v163, v156
	;; [unrolled: 1-line block ×6, first 2 shown]
	v_mul_lo_u16 v82, v78, 17
	s_waitcnt lgkmcnt(0)
	s_barrier
	buffer_gl0_inv
	s_and_saveexec_b32 s4, vcc_lo
	s_cbranch_execz .LBB0_7
; %bb.6:
	v_mul_f32_e32 v116, 0x3f6eb680, v90
	v_mul_f32_e32 v124, 0x3f3d2fb0, v90
	;; [unrolled: 1-line block ×7, first 2 shown]
	v_add_f32_e32 v90, v146, v90
	v_mul_f32_e32 v158, 0xbf1a4643, v98
	v_mul_f32_e32 v98, 0xbf7ba420, v98
	v_add_f32_e32 v94, v147, v94
	v_mul_f32_e32 v160, 0x3dbcf732, v102
	v_add_f32_e32 v90, v90, v52
	v_mul_f32_e32 v162, 0xbf7ba420, v102
	v_mul_f32_e32 v102, 0xbe8c1d8e, v102
	v_mul_f32_e32 v164, 0xbe8c1d8e, v106
	v_mul_f32_e32 v165, 0xbf59a7d5, v106
	v_add_f32_e32 v90, v94, v90
	v_add_f32_e32 v94, v148, v98
	v_mul_f32_e32 v106, 0x3f3d2fb0, v106
	v_mul_f32_e32 v111, 0x3f6eb680, v89
	v_mul_f32_e32 v117, 0x3f3d2fb0, v89
	v_mul_f32_e32 v89, 0x3ee437d1, v89
	v_add_f32_e32 v90, v94, v90
	;; [unrolled: 6-line block ×3, first 2 shown]
	v_add_f32_e32 v94, v153, v106
	v_mul_f32_e32 v137, 0x3dbcf732, v93
	v_mul_f32_e32 v93, 0xbf1a4643, v93
	;; [unrolled: 1-line block ×5, first 2 shown]
	v_sub_f32_e32 v89, v89, v140
	v_add_f32_e32 v90, v94, v90
	v_add_f32_e32 v94, v109, v152
	v_mul_f32_e32 v150, 0x3ee437d1, v97
	v_mul_f32_e32 v157, 0xbf1a4643, v97
	;; [unrolled: 1-line block ×4, first 2 shown]
	v_add_f32_e32 v89, v89, v51
	v_sub_f32_e32 v93, v93, v143
	v_mul_f32_e32 v109, 0x3f6eb680, v133
	v_mul_f32_e32 v133, 0xbf59a7d5, v133
	v_add_f32_e32 v90, v94, v90
	v_add_f32_e32 v94, v115, v154
	v_mul_f32_e32 v159, 0x3dbcf732, v101
	v_mul_f32_e32 v161, 0xbf7ba420, v101
	v_mul_f32_e32 v101, 0xbe8c1d8e, v101
	v_add_f32_e32 v89, v93, v89
	v_sub_f32_e32 v93, v97, v144
	v_add_f32_e32 v115, v129, v124
	v_add_f32_e32 v90, v94, v90
	;; [unrolled: 1-line block ×3, first 2 shown]
	v_mul_f32_e32 v163, 0xbe8c1d8e, v105
	v_mul_f32_e32 v146, 0xbf59a7d5, v105
	;; [unrolled: 1-line block ×3, first 2 shown]
	v_add_f32_e32 v89, v93, v89
	v_sub_f32_e32 v93, v101, v142
	v_add_f32_e32 v101, v115, v52
	v_add_f32_e32 v115, v131, v149
	;; [unrolled: 1-line block ×3, first 2 shown]
	v_sub_f32_e32 v94, v117, v119
	v_add_f32_e32 v33, v33, v52
	v_add_f32_e32 v32, v32, v51
	v_mul_f32_e32 v98, 0xbeb8f4ab, v110
	v_add_f32_e32 v89, v93, v89
	v_sub_f32_e32 v93, v105, v138
	v_add_f32_e32 v101, v115, v101
	v_add_f32_e32 v105, v127, v158
	;; [unrolled: 1-line block ×3, first 2 shown]
	v_sub_f32_e32 v115, v137, v120
	v_add_f32_e32 v33, v35, v33
	v_add_f32_e32 v32, v34, v32
	v_mul_f32_e32 v147, 0xbf4c4adb, v110
	v_mul_f32_e32 v167, 0x3f763a35, v110
	v_mul_f32_e32 v110, 0xbf06c442, v114
	v_mul_f32_e32 v102, 0x3f65296c, v114
	v_mul_f32_e32 v114, 0xbf7ee86f, v114
	v_add_f32_e32 v89, v93, v89
	v_sub_f32_e32 v93, v139, v98
	v_add_f32_e32 v98, v105, v101
	v_add_f32_e32 v101, v128, v162
	v_add_f32_e32 v94, v115, v94
	v_sub_f32_e32 v105, v157, v122
	v_add_f32_e32 v29, v29, v33
	v_add_f32_e32 v28, v28, v32
	v_mul_f32_e32 v97, 0xbf06c442, v134
	v_add_f32_e32 v89, v93, v89
	v_sub_f32_e32 v93, v141, v114
	v_add_f32_e32 v98, v101, v98
	v_add_f32_e32 v101, v130, v165
	v_add_f32_e32 v94, v105, v94
	v_sub_f32_e32 v105, v161, v123
	v_add_f32_e32 v29, v31, v29
	v_add_f32_e32 v30, v30, v28
	;; [unrolled: 4-line block ×3, first 2 shown]
	v_sub_f32_e32 v101, v146, v125
	v_add_f32_e32 v17, v17, v29
	v_add_f32_e32 v16, v16, v30
	v_sub_f32_e32 v34, v112, v167
	v_sub_f32_e32 v33, v113, v102
	v_add_f32_e32 v94, v101, v94
	v_add_f32_e32 v17, v19, v17
	v_add_f32_e32 v16, v18, v16
	v_sub_f32_e32 v30, v111, v83
	v_add_f32_e32 v18, v86, v136
	v_add_f32_e32 v32, v34, v94
	v_add_f32_e32 v13, v13, v17
	v_add_f32_e32 v12, v12, v16
	v_add_f32_e32 v19, v30, v51
	v_sub_f32_e32 v30, v126, v85
	v_add_f32_e32 v31, v33, v32
	v_add_f32_e32 v32, v84, v116
	;; [unrolled: 6-line block ×3, first 2 shown]
	v_add_f32_e32 v12, v24, v12
	v_add_f32_e32 v98, v168, v132
	v_mul_f32_e32 v106, 0xbe3c28d5, v134
	v_add_f32_e32 v16, v18, v32
	v_add_f32_e32 v18, v30, v19
	;; [unrolled: 1-line block ×4, first 2 shown]
	v_mul_f32_e32 v153, 0x3eb8f4ab, v134
	v_add_f32_e32 v15, v17, v16
	v_add_f32_e32 v16, v92, v160
	v_add_f32_e32 v14, v14, v18
	v_sub_f32_e32 v17, v159, v91
	v_add_f32_e32 v13, v21, v13
	v_add_f32_e32 v12, v20, v12
	v_add_f32_e32 v15, v16, v15
	v_add_f32_e32 v16, v96, v164
	v_add_f32_e32 v14, v17, v14
	v_sub_f32_e32 v17, v163, v95
	v_add_f32_e32 v13, v23, v13
	v_add_f32_e32 v12, v22, v12
	;; [unrolled: 6-line block ×4, first 2 shown]
	v_add_f32_e32 v97, v98, v97
	v_add_f32_e32 v98, v151, v118
	;; [unrolled: 1-line block ×5, first 2 shown]
	v_sub_f32_e32 v12, v107, v106
	v_add_f32_e32 v9, v5, v9
	v_add_f32_e32 v8, v4, v8
	v_and_b32_e32 v13, 0xffff, v82
	v_add_f32_e32 v35, v98, v97
	v_add_f32_e32 v97, v109, v135
	v_sub_f32_e32 v29, v121, v153
	v_add_f32_e32 v5, v10, v14
	v_add_f32_e32 v4, v12, v11
	;; [unrolled: 1-line block ×4, first 2 shown]
	v_add_lshl_u32 v8, v81, v13, 3
	v_add_f32_e32 v89, v93, v89
	v_add_f32_e32 v28, v97, v35
	;; [unrolled: 1-line block ×3, first 2 shown]
	ds_write2_b64 v8, v[6:7], v[4:5] offset1:1
	ds_write2_b64 v8, v[27:28], v[89:90] offset0:2 offset1:3
	ds_write2_b64 v8, v[43:44], v[45:46] offset0:4 offset1:5
	;; [unrolled: 1-line block ×7, first 2 shown]
	ds_write_b64 v8, v[2:3] offset:128
.LBB0_7:
	s_or_b32 exec_lo, exec_lo, s4
	v_mad_u64_u32 v[8:9], null, v78, 24, s[2:3]
	s_load_dwordx4 s[0:3], s[0:1], 0x0
	s_waitcnt lgkmcnt(0)
	s_barrier
	buffer_gl0_inv
	v_add_lshl_u32 v29, v81, v78, 3
	v_lshl_add_u32 v28, v78, 3, v80
	s_clause 0x1
	global_load_dwordx4 v[4:7], v[8:9], off
	global_load_dwordx2 v[16:17], v[8:9], off offset:16
	ds_read2_b64 v[8:11], v29 offset1:17
	ds_read2_b64 v[12:15], v29 offset0:34 offset1:51
	s_waitcnt vmcnt(1) lgkmcnt(1)
	v_mul_f32_e32 v18, v11, v5
	v_mul_f32_e32 v19, v10, v5
	s_waitcnt lgkmcnt(0)
	v_mul_f32_e32 v20, v13, v7
	v_mul_f32_e32 v21, v12, v7
	s_waitcnt vmcnt(0)
	v_mul_f32_e32 v22, v15, v17
	v_mul_f32_e32 v23, v14, v17
	v_fma_f32 v10, v10, v4, -v18
	v_fmac_f32_e32 v19, v11, v4
	v_fma_f32 v11, v12, v6, -v20
	v_fmac_f32_e32 v21, v13, v6
	;; [unrolled: 2-line block ×3, first 2 shown]
	v_sub_f32_e32 v11, v8, v11
	v_sub_f32_e32 v13, v9, v21
	;; [unrolled: 1-line block ×4, first 2 shown]
	v_fma_f32 v18, v8, 2.0, -v11
	v_fma_f32 v20, v9, 2.0, -v13
	;; [unrolled: 1-line block ×4, first 2 shown]
	v_sub_f32_e32 v8, v11, v14
	v_add_f32_e32 v9, v13, v12
	v_sub_f32_e32 v14, v18, v10
	v_sub_f32_e32 v15, v20, v15
	v_fma_f32 v12, v11, 2.0, -v8
	v_fma_f32 v13, v13, 2.0, -v9
	;; [unrolled: 1-line block ×4, first 2 shown]
	ds_write2_b64 v28, v[14:15], v[8:9] offset0:34 offset1:51
	ds_write2_b64 v28, v[18:19], v[12:13] offset1:17
	s_waitcnt lgkmcnt(0)
	s_barrier
	buffer_gl0_inv
	s_and_saveexec_b32 s8, vcc_lo
	s_cbranch_execz .LBB0_9
; %bb.8:
	global_load_dwordx2 v[10:11], v61, s[6:7] offset:544
	s_add_u32 s4, s6, 0x220
	s_addc_u32 s5, s7, 0
	s_clause 0xf
	global_load_dwordx2 v[34:35], v61, s[4:5] offset:32
	global_load_dwordx2 v[51:52], v61, s[4:5] offset:64
	;; [unrolled: 1-line block ×16, first 2 shown]
	ds_read_b64 v[20:21], v79
	s_waitcnt vmcnt(16) lgkmcnt(0)
	v_mul_f32_e32 v22, v21, v11
	v_mul_f32_e32 v23, v20, v11
	v_fma_f32 v22, v20, v10, -v22
	v_fmac_f32_e32 v23, v21, v10
	ds_write_b64 v79, v[22:23]
	ds_read2_b64 v[20:23], v28 offset0:4 offset1:8
	ds_read2_b64 v[24:27], v28 offset0:12 offset1:16
	;; [unrolled: 1-line block ×8, first 2 shown]
	s_waitcnt vmcnt(15) lgkmcnt(7)
	v_mul_f32_e32 v10, v21, v35
	v_mul_f32_e32 v11, v20, v35
	s_waitcnt vmcnt(14)
	v_mul_f32_e32 v81, v23, v52
	v_mul_f32_e32 v35, v22, v52
	s_waitcnt vmcnt(13) lgkmcnt(6)
	v_mul_f32_e32 v131, v25, v104
	v_mul_f32_e32 v52, v24, v104
	s_waitcnt vmcnt(12)
	v_mul_f32_e32 v132, v27, v106
	v_mul_f32_e32 v104, v26, v106
	;; [unrolled: 6-line block ×8, first 2 shown]
	v_fma_f32 v10, v20, v34, -v10
	v_fmac_f32_e32 v11, v21, v34
	v_fma_f32 v34, v22, v51, -v81
	v_fmac_f32_e32 v35, v23, v51
	;; [unrolled: 2-line block ×16, first 2 shown]
	ds_write2_b64 v28, v[10:11], v[34:35] offset0:4 offset1:8
	ds_write2_b64 v28, v[51:52], v[103:104] offset0:12 offset1:16
	;; [unrolled: 1-line block ×8, first 2 shown]
.LBB0_9:
	s_or_b32 exec_lo, exec_lo, s8
	s_waitcnt lgkmcnt(0)
	s_barrier
	buffer_gl0_inv
	s_and_saveexec_b32 s4, vcc_lo
	s_cbranch_execz .LBB0_11
; %bb.10:
	ds_read2_b64 v[20:23], v28 offset0:20 offset1:24
	ds_read2_b64 v[24:27], v28 offset0:28 offset1:32
	;; [unrolled: 1-line block ×6, first 2 shown]
	ds_read_b64 v[18:19], v79
	ds_read2_b64 v[12:15], v28 offset0:4 offset1:8
	ds_read2_b64 v[8:11], v28 offset0:12 offset1:16
	s_waitcnt lgkmcnt(8)
	v_mov_b32_e32 v50, v23
	v_mov_b32_e32 v49, v22
	s_waitcnt lgkmcnt(7)
	v_mov_b32_e32 v56, v25
	v_mov_b32_e32 v55, v24
	v_mov_b32_e32 v60, v27
	v_mov_b32_e32 v59, v26
	s_waitcnt lgkmcnt(5)
	v_mov_b32_e32 v38, v33
	v_mov_b32_e32 v37, v32
	;; [unrolled: 5-line block ×5, first 2 shown]
.LBB0_11:
	s_or_b32 exec_lo, exec_lo, s4
	s_barrier
	buffer_gl0_inv
	s_and_saveexec_b32 s4, vcc_lo
	s_cbranch_execz .LBB0_13
; %bb.12:
	v_add_f32_e32 v145, v3, v13
	v_sub_f32_e32 v35, v12, v2
	v_add_f32_e32 v139, v1, v15
	v_sub_f32_e32 v31, v14, v0
	v_add_f32_e32 v135, v38, v9
	v_mul_f32_e32 v94, 0xbf7ba420, v145
	v_sub_f32_e32 v32, v8, v37
	v_mul_f32_e32 v95, 0x3f6eb680, v139
	v_add_f32_e32 v132, v40, v44
	v_mul_f32_e32 v96, 0xbf59a7d5, v135
	v_fmamk_f32 v10, v35, 0x3e3c28d5, v94
	v_sub_f32_e32 v30, v43, v39
	v_fmamk_f32 v11, v31, 0xbeb8f4ab, v95
	v_add_f32_e32 v120, v42, v46
	v_mul_f32_e32 v97, 0x3f3d2fb0, v132
	v_add_f32_e32 v10, v19, v10
	v_fmamk_f32 v20, v32, 0x3f06c442, v96
	v_sub_f32_e32 v181, v13, v3
	v_sub_f32_e32 v33, v45, v41
	v_sub_f32_e32 v119, v49, v47
	v_add_f32_e32 v10, v11, v10
	v_mul_f32_e32 v103, 0xbf1a4643, v120
	v_fmamk_f32 v11, v30, 0xbf2c7751, v97
	v_add_f32_e32 v52, v2, v12
	v_mul_f32_e32 v99, 0xbe3c28d5, v181
	v_add_f32_e32 v10, v20, v10
	v_sub_f32_e32 v167, v15, v1
	v_add_f32_e32 v34, v50, v48
	v_sub_f32_e32 v121, v55, v53
	v_mul_f32_e32 v98, 0x3f65296c, v119
	v_fmamk_f32 v20, v33, 0x3f4c4adb, v103
	v_add_f32_e32 v10, v11, v10
	v_add_f32_e32 v83, v0, v14
	v_fmamk_f32 v21, v52, 0xbf7ba420, v99
	v_mul_f32_e32 v102, 0x3eb8f4ab, v167
	v_sub_f32_e32 v168, v9, v38
	v_fma_f32 v11, 0x3ee437d1, v34, -v98
	v_add_f32_e32 v10, v20, v10
	v_add_f32_e32 v51, v56, v54
	v_mul_f32_e32 v92, 0xbf763a35, v121
	v_add_f32_e32 v20, v18, v21
	v_fmamk_f32 v21, v83, 0x3f6eb680, v102
	v_add_f32_e32 v84, v37, v8
	v_mul_f32_e32 v93, 0xbf06c442, v168
	v_sub_f32_e32 v171, v44, v40
	v_add_f32_e32 v10, v11, v10
	v_fma_f32 v11, 0xbe8c1d8e, v51, -v92
	v_add_f32_e32 v20, v21, v20
	v_fmamk_f32 v21, v84, 0xbf59a7d5, v93
	v_add_f32_e32 v85, v39, v43
	v_mul_f32_e32 v90, 0x3f2c7751, v171
	v_sub_f32_e32 v175, v46, v42
	v_add_f32_e32 v10, v11, v10
	v_add_f32_e32 v11, v21, v20
	;; [unrolled: 1-line block ×3, first 2 shown]
	v_fmamk_f32 v20, v85, 0x3f3d2fb0, v90
	v_mul_f32_e32 v91, 0xbf4c4adb, v175
	v_sub_f32_e32 v172, v50, v48
	v_mul_f32_e32 v118, 0xbf59a7d5, v145
	v_sub_f32_e32 v174, v59, v57
	v_add_f32_e32 v11, v20, v11
	v_fmamk_f32 v20, v86, 0xbf1a4643, v91
	v_add_f32_e32 v87, v49, v47
	v_mul_f32_e32 v100, 0x3f65296c, v172
	v_sub_f32_e32 v179, v56, v54
	v_mul_f32_e32 v104, 0x3ee437d1, v139
	v_add_f32_e32 v11, v20, v11
	v_fmamk_f32 v20, v35, 0x3f06c442, v118
	v_add_f32_e32 v81, v60, v58
	v_mul_f32_e32 v109, 0x3f7ee86f, v174
	v_fmamk_f32 v21, v87, 0x3ee437d1, v100
	v_add_f32_e32 v88, v55, v53
	v_mul_f32_e32 v101, 0xbf763a35, v179
	v_add_f32_e32 v20, v19, v20
	v_fmamk_f32 v22, v31, 0xbf65296c, v104
	v_mul_f32_e32 v108, 0x3dbcf732, v135
	v_fma_f32 v23, 0x3dbcf732, v81, -v109
	v_add_f32_e32 v21, v21, v11
	v_fmamk_f32 v24, v88, 0xbe8c1d8e, v101
	v_add_f32_e32 v20, v22, v20
	v_fmamk_f32 v22, v32, 0x3f7ee86f, v108
	v_mul_f32_e32 v110, 0xbf1a4643, v132
	v_add_f32_e32 v11, v23, v10
	v_add_f32_e32 v10, v24, v21
	v_mul_f32_e32 v111, 0x3f6eb680, v120
	v_add_f32_e32 v20, v22, v20
	v_fmamk_f32 v21, v30, 0xbf4c4adb, v110
	v_mul_f32_e32 v126, 0xbf06c442, v181
	v_mul_f32_e32 v115, 0xbe3c28d5, v119
	;; [unrolled: 1-line block ×3, first 2 shown]
	v_sub_f32_e32 v185, v60, v58
	v_add_f32_e32 v20, v21, v20
	v_fmamk_f32 v21, v33, 0x3eb8f4ab, v111
	v_fmamk_f32 v22, v52, 0xbf59a7d5, v126
	v_mul_f32_e32 v112, 0x3f2c7751, v121
	v_fmamk_f32 v23, v83, 0x3ee437d1, v127
	v_mul_f32_e32 v128, 0xbf7ee86f, v168
	v_add_f32_e32 v20, v21, v20
	v_fma_f32 v21, 0xbf7ba420, v34, -v115
	v_add_f32_e32 v22, v18, v22
	v_add_f32_e32 v89, v59, v57
	v_mul_f32_e32 v117, 0x3f7ee86f, v185
	v_mul_f32_e32 v131, 0x3f4c4adb, v171
	v_add_f32_e32 v20, v21, v20
	v_fma_f32 v21, 0x3f3d2fb0, v51, -v112
	v_add_f32_e32 v22, v23, v22
	v_fmamk_f32 v23, v84, 0x3dbcf732, v128
	v_mul_f32_e32 v122, 0xbf1a4643, v145
	v_fmamk_f32 v24, v89, 0x3dbcf732, v117
	v_add_f32_e32 v20, v21, v20
	v_mul_f32_e32 v148, 0xbeb8f4ab, v175
	v_add_f32_e32 v21, v23, v22
	v_fmamk_f32 v22, v85, 0xbf1a4643, v131
	v_fmamk_f32 v23, v35, 0x3f4c4adb, v122
	v_mul_f32_e32 v116, 0xbe8c1d8e, v139
	v_add_f32_e32 v10, v24, v10
	v_mul_f32_e32 v149, 0xbe3c28d5, v172
	v_add_f32_e32 v21, v22, v21
	v_fmamk_f32 v22, v86, 0x3f6eb680, v148
	v_add_f32_e32 v23, v19, v23
	v_fmamk_f32 v24, v31, 0xbf763a35, v116
	v_mul_f32_e32 v105, 0x3f6eb680, v135
	v_mul_f32_e32 v123, 0xbf763a35, v174
	v_add_f32_e32 v21, v22, v21
	v_fmamk_f32 v22, v87, 0xbf7ba420, v149
	v_mul_f32_e32 v136, 0x3f2c7751, v179
	v_add_f32_e32 v23, v24, v23
	v_fmamk_f32 v24, v32, 0x3eb8f4ab, v105
	v_mul_f32_e32 v106, 0xbf59a7d5, v132
	v_fma_f32 v25, 0xbe8c1d8e, v81, -v123
	v_add_f32_e32 v22, v22, v21
	v_fmamk_f32 v26, v88, 0x3f3d2fb0, v136
	v_add_f32_e32 v23, v24, v23
	v_fmamk_f32 v24, v30, 0x3f06c442, v106
	v_mul_f32_e32 v107, 0x3dbcf732, v120
	v_mul_f32_e32 v138, 0xbf4c4adb, v181
	v_add_f32_e32 v21, v25, v20
	v_add_f32_e32 v20, v26, v22
	;; [unrolled: 1-line block ×3, first 2 shown]
	v_fmamk_f32 v23, v33, 0xbf7ee86f, v107
	v_mul_f32_e32 v113, 0xbf2c7751, v119
	v_fmamk_f32 v24, v52, 0xbf1a4643, v138
	v_mul_f32_e32 v140, 0x3f763a35, v167
	v_mul_f32_e32 v114, 0xbe3c28d5, v121
	v_add_f32_e32 v22, v23, v22
	v_fma_f32 v23, 0x3f3d2fb0, v34, -v113
	v_add_f32_e32 v24, v18, v24
	v_fmamk_f32 v25, v83, 0xbe8c1d8e, v140
	v_mul_f32_e32 v129, 0xbeb8f4ab, v168
	v_mul_f32_e32 v146, 0xbf763a35, v185
	v_add_f32_e32 v22, v23, v22
	v_fma_f32 v23, 0xbf7ba420, v51, -v114
	v_add_f32_e32 v24, v25, v24
	v_fmamk_f32 v25, v84, 0x3f6eb680, v129
	v_mul_f32_e32 v130, 0xbf06c442, v171
	v_mul_f32_e32 v157, 0xbe8c1d8e, v145
	v_fmamk_f32 v26, v89, 0xbe8c1d8e, v146
	v_add_f32_e32 v22, v23, v22
	v_add_f32_e32 v23, v25, v24
	v_fmamk_f32 v24, v85, 0xbf59a7d5, v130
	v_mul_f32_e32 v141, 0x3f7ee86f, v175
	v_fmamk_f32 v25, v35, 0x3f763a35, v157
	v_mul_f32_e32 v158, 0xbf59a7d5, v139
	v_add_f32_e32 v20, v26, v20
	v_add_f32_e32 v23, v24, v23
	v_fmamk_f32 v24, v86, 0x3dbcf732, v141
	v_mul_f32_e32 v142, 0xbf2c7751, v172
	v_add_f32_e32 v25, v19, v25
	v_fmamk_f32 v26, v31, 0xbf06c442, v158
	v_mul_f32_e32 v159, 0x3f3d2fb0, v135
	v_mul_f32_e32 v125, 0x3f65296c, v174
	v_add_f32_e32 v23, v24, v23
	v_fmamk_f32 v24, v87, 0x3f3d2fb0, v142
	v_mul_f32_e32 v143, 0xbe3c28d5, v179
	v_add_f32_e32 v25, v26, v25
	v_fmamk_f32 v26, v32, 0xbf2c7751, v159
	v_mul_f32_e32 v160, 0x3ee437d1, v132
	v_fma_f32 v27, 0x3ee437d1, v81, -v125
	v_add_f32_e32 v24, v24, v23
	v_fmamk_f32 v124, v88, 0xbf7ba420, v143
	v_add_f32_e32 v25, v26, v25
	v_fmamk_f32 v26, v30, 0x3f65296c, v160
	v_mul_f32_e32 v161, 0xbf7ba420, v120
	v_mul_f32_e32 v162, 0xbf763a35, v181
	v_add_f32_e32 v23, v27, v22
	v_add_f32_e32 v22, v124, v24
	;; [unrolled: 1-line block ×3, first 2 shown]
	v_fmamk_f32 v25, v33, 0x3e3c28d5, v161
	v_mul_f32_e32 v163, 0x3f7ee86f, v119
	v_fmamk_f32 v26, v52, 0xbe8c1d8e, v162
	v_mul_f32_e32 v164, 0x3f06c442, v167
	v_mul_f32_e32 v166, 0x3f65296c, v185
	v_add_f32_e32 v24, v25, v24
	v_fma_f32 v25, 0x3dbcf732, v34, -v163
	v_mul_f32_e32 v144, 0xbeb8f4ab, v121
	v_add_f32_e32 v26, v18, v26
	v_fmamk_f32 v27, v83, 0xbf59a7d5, v164
	v_mul_f32_e32 v147, 0x3f2c7751, v168
	v_fmamk_f32 v133, v89, 0x3ee437d1, v166
	v_add_f32_e32 v24, v25, v24
	v_fma_f32 v25, 0x3f6eb680, v51, -v144
	v_add_f32_e32 v26, v27, v26
	v_fmamk_f32 v27, v84, 0x3f3d2fb0, v147
	v_mul_f32_e32 v124, 0xbf65296c, v171
	v_mul_f32_e32 v177, 0x3dbcf732, v145
	v_add_f32_e32 v22, v133, v22
	v_add_f32_e32 v24, v25, v24
	;; [unrolled: 1-line block ×3, first 2 shown]
	v_fmamk_f32 v26, v85, 0x3ee437d1, v124
	v_mul_f32_e32 v133, 0xbe3c28d5, v175
	v_fmamk_f32 v27, v35, 0x3f7ee86f, v177
	v_mul_f32_e32 v150, 0xbf7ba420, v139
	v_mul_f32_e32 v134, 0x3f7ee86f, v172
	v_add_f32_e32 v25, v26, v25
	v_fmamk_f32 v26, v86, 0xbf7ba420, v133
	v_add_f32_e32 v27, v19, v27
	v_fmamk_f32 v152, v31, 0x3e3c28d5, v150
	v_mul_f32_e32 v151, 0xbe8c1d8e, v135
	v_mul_f32_e32 v178, 0xbf4c4adb, v174
	v_add_f32_e32 v25, v26, v25
	v_fmamk_f32 v26, v87, 0x3dbcf732, v134
	v_mul_f32_e32 v137, 0xbeb8f4ab, v179
	v_add_f32_e32 v27, v152, v27
	v_fmamk_f32 v152, v32, 0xbf763a35, v151
	v_mul_f32_e32 v155, 0x3f6eb680, v132
	v_fma_f32 v153, 0xbf1a4643, v81, -v178
	v_add_f32_e32 v26, v26, v25
	v_fmamk_f32 v154, v88, 0x3f6eb680, v137
	v_add_f32_e32 v27, v152, v27
	v_fmamk_f32 v152, v30, 0xbeb8f4ab, v155
	v_mul_f32_e32 v156, 0x3ee437d1, v120
	v_mul_f32_e32 v184, 0xbf7ee86f, v181
	v_add_f32_e32 v25, v153, v24
	v_add_f32_e32 v24, v154, v26
	;; [unrolled: 1-line block ×3, first 2 shown]
	v_fmamk_f32 v27, v33, 0x3f65296c, v156
	v_mul_f32_e32 v169, 0xbf06c442, v119
	v_fmamk_f32 v152, v52, 0x3dbcf732, v184
	v_mul_f32_e32 v186, 0xbe3c28d5, v167
	v_mul_f32_e32 v165, 0x3f4c4adb, v121
	v_add_f32_e32 v26, v27, v26
	v_fma_f32 v27, 0xbf59a7d5, v34, -v169
	v_add_f32_e32 v152, v18, v152
	v_fmamk_f32 v153, v83, 0xbf7ba420, v186
	v_mul_f32_e32 v187, 0x3f763a35, v168
	v_mul_f32_e32 v173, 0xbf4c4adb, v185
	v_add_f32_e32 v26, v27, v26
	v_fma_f32 v27, 0xbf1a4643, v51, -v165
	v_add_f32_e32 v152, v153, v152
	v_fmamk_f32 v153, v84, 0xbe8c1d8e, v187
	v_mul_f32_e32 v188, 0x3eb8f4ab, v171
	v_mul_f32_e32 v182, 0x3ee437d1, v145
	v_fmamk_f32 v154, v89, 0xbf1a4643, v173
	v_add_f32_e32 v26, v27, v26
	v_add_f32_e32 v27, v153, v152
	v_fmamk_f32 v152, v85, 0x3f6eb680, v188
	v_mul_f32_e32 v193, 0xbf65296c, v175
	v_fmamk_f32 v153, v35, 0x3f65296c, v182
	v_mul_f32_e32 v170, 0xbf1a4643, v139
	v_add_f32_e32 v24, v154, v24
	v_add_f32_e32 v27, v152, v27
	v_fmamk_f32 v154, v86, 0x3ee437d1, v193
	v_mul_f32_e32 v195, 0xbf06c442, v172
	v_add_f32_e32 v153, v19, v153
	v_fmamk_f32 v176, v31, 0x3f4c4adb, v170
	v_mul_f32_e32 v152, 0xbf7ba420, v135
	v_mul_f32_e32 v183, 0x3f2c7751, v174
	v_add_f32_e32 v27, v154, v27
	v_fmamk_f32 v154, v87, 0xbf59a7d5, v195
	v_mul_f32_e32 v191, 0x3f4c4adb, v179
	v_add_f32_e32 v176, v176, v153
	v_fmamk_f32 v180, v32, 0xbe3c28d5, v152
	v_mul_f32_e32 v153, 0xbe8c1d8e, v132
	v_fma_f32 v189, 0x3f3d2fb0, v81, -v183
	v_add_f32_e32 v190, v154, v27
	v_fmamk_f32 v194, v88, 0xbf1a4643, v191
	v_add_f32_e32 v176, v180, v176
	v_fmamk_f32 v180, v30, 0xbf763a35, v153
	v_mul_f32_e32 v154, 0x3f3d2fb0, v120
	v_mul_f32_e32 v192, 0xbf65296c, v181
	v_add_f32_e32 v27, v189, v26
	v_add_f32_e32 v26, v194, v190
	;; [unrolled: 1-line block ×3, first 2 shown]
	v_fmamk_f32 v189, v33, 0xbf2c7751, v154
	v_fmamk_f32 v190, v52, 0x3ee437d1, v192
	v_mul_f32_e32 v194, 0xbf4c4adb, v167
	v_mul_f32_e32 v176, 0xbeb8f4ab, v119
	;; [unrolled: 1-line block ×3, first 2 shown]
	v_add_f32_e32 v196, v189, v180
	v_add_f32_e32 v190, v18, v190
	v_fmamk_f32 v198, v83, 0xbf1a4643, v194
	v_mul_f32_e32 v189, 0x3e3c28d5, v168
	v_fma_f32 v199, 0x3f6eb680, v34, -v176
	v_fmamk_f32 v200, v89, 0x3f3d2fb0, v197
	v_add_f32_e32 v13, v13, v19
	v_add_f32_e32 v201, v198, v190
	v_fmamk_f32 v202, v84, 0xbf7ba420, v189
	v_mul_f32_e32 v190, 0x3f763a35, v171
	v_add_f32_e32 v205, v199, v196
	v_add_f32_e32 v26, v200, v26
	v_mul_f32_e32 v198, 0x3f3d2fb0, v145
	v_add_f32_e32 v199, v202, v201
	v_fmamk_f32 v200, v85, 0xbe8c1d8e, v190
	v_mul_f32_e32 v196, 0x3f2c7751, v175
	v_add_f32_e32 v12, v12, v18
	v_fmamk_f32 v201, v35, 0x3f2c7751, v198
	v_add_f32_e32 v13, v15, v13
	v_add_f32_e32 v200, v200, v199
	v_mul_f32_e32 v199, 0x3dbcf732, v139
	v_add_f32_e32 v12, v14, v12
	v_fmamk_f32 v14, v86, 0x3f3d2fb0, v196
	v_add_f32_e32 v201, v19, v201
	v_mul_f32_e32 v15, 0xbf1a4643, v135
	v_fmamk_f32 v202, v31, 0x3f7ee86f, v199
	v_mul_f32_e32 v180, 0xbf7ee86f, v121
	v_add_f32_e32 v203, v14, v200
	v_mul_f32_e32 v14, 0xbeb8f4ab, v172
	v_fmamk_f32 v204, v32, 0x3f4c4adb, v15
	v_add_f32_e32 v201, v202, v201
	v_mul_f32_e32 v202, 0xbf7ba420, v132
	v_add_f32_e32 v9, v9, v13
	v_add_f32_e32 v8, v8, v12
	v_fmamk_f32 v12, v87, 0x3f6eb680, v14
	v_add_f32_e32 v13, v204, v201
	v_fmamk_f32 v204, v30, 0x3e3c28d5, v202
	v_fma_f32 v206, 0x3dbcf732, v51, -v180
	v_mul_f32_e32 v200, 0xbf06c442, v174
	v_mul_f32_e32 v201, 0xbf7ee86f, v179
	v_add_f32_e32 v12, v12, v203
	v_mul_f32_e32 v203, 0xbf59a7d5, v120
	v_add_f32_e32 v208, v44, v9
	v_add_f32_e32 v9, v204, v13
	v_mul_f32_e32 v204, 0xbf2c7751, v181
	v_add_f32_e32 v209, v43, v8
	v_fmamk_f32 v8, v88, 0x3dbcf732, v201
	v_mul_f32_e32 v43, 0xbf06c442, v185
	v_fmamk_f32 v13, v33, 0xbf06c442, v203
	v_add_f32_e32 v44, v206, v205
	v_fma_f32 v206, 0xbf59a7d5, v81, -v200
	v_fmamk_f32 v210, v52, 0x3f3d2fb0, v204
	v_mul_f32_e32 v205, 0xbf7ee86f, v167
	v_add_f32_e32 v8, v8, v12
	v_fmamk_f32 v12, v89, 0xbf59a7d5, v43
	v_add_f32_e32 v13, v13, v9
	v_mul_f32_e32 v207, 0x3f763a35, v119
	v_add_f32_e32 v9, v206, v44
	v_add_f32_e32 v206, v18, v210
	v_fmamk_f32 v210, v83, 0x3dbcf732, v205
	v_mul_f32_e32 v44, 0xbf4c4adb, v168
	v_add_f32_e32 v8, v12, v8
	v_fma_f32 v12, 0xbe8c1d8e, v34, -v207
	v_add_f32_e32 v208, v46, v208
	v_add_f32_e32 v210, v210, v206
	v_fmamk_f32 v211, v84, 0xbf1a4643, v44
	v_mul_f32_e32 v46, 0xbe3c28d5, v171
	v_add_f32_e32 v209, v45, v209
	v_add_f32_e32 v12, v12, v13
	v_mul_f32_e32 v45, 0x3f06c442, v175
	v_add_f32_e32 v13, v211, v210
	v_fmamk_f32 v210, v85, 0xbf7ba420, v46
	v_add_f32_e32 v50, v50, v208
	v_mul_f32_e32 v206, 0x3f65296c, v121
	v_add_f32_e32 v208, v49, v209
	v_mul_f32_e32 v49, 0x3f763a35, v172
	v_add_f32_e32 v13, v210, v13
	v_fmamk_f32 v210, v86, 0xbf59a7d5, v45
	v_add_f32_e32 v50, v56, v50
	v_fma_f32 v209, 0x3ee437d1, v51, -v206
	v_add_f32_e32 v56, v55, v208
	v_mul_f32_e32 v55, 0x3f65296c, v179
	v_add_f32_e32 v13, v210, v13
	v_add_f32_e32 v208, v60, v50
	v_fmamk_f32 v60, v87, 0xbe8c1d8e, v49
	v_add_f32_e32 v12, v209, v12
	v_add_f32_e32 v209, v59, v56
	v_mul_f32_e32 v50, 0x3eb8f4ab, v174
	v_mul_f32_e32 v59, 0x3f6eb680, v145
	v_add_f32_e32 v13, v60, v13
	v_fmamk_f32 v145, v88, 0x3ee437d1, v55
	v_mul_f32_e32 v56, 0x3eb8f4ab, v185
	v_fma_f32 v210, 0x3f6eb680, v81, -v50
	v_mul_f32_e32 v60, 0x3f3d2fb0, v139
	v_fmac_f32_e32 v94, 0xbe3c28d5, v35
	v_add_f32_e32 v139, v145, v13
	v_fmamk_f32 v145, v89, 0x3f6eb680, v56
	v_add_f32_e32 v13, v210, v12
	v_fmac_f32_e32 v95, 0x3eb8f4ab, v31
	v_add_f32_e32 v94, v19, v94
	v_fmac_f32_e32 v96, 0xbf06c442, v32
	v_add_f32_e32 v12, v145, v139
	v_add_f32_e32 v139, v58, v208
	v_mul_f32_e32 v58, 0x3dbcf732, v132
	v_add_f32_e32 v132, v57, v209
	v_fmamk_f32 v211, v35, 0x3eb8f4ab, v59
	v_fmac_f32_e32 v97, 0x3f2c7751, v30
	v_add_f32_e32 v54, v54, v139
	v_mul_f32_e32 v135, 0x3ee437d1, v135
	v_add_f32_e32 v53, v53, v132
	v_add_f32_e32 v210, v19, v211
	v_fmamk_f32 v211, v31, 0x3f2c7751, v60
	v_add_f32_e32 v54, v48, v54
	v_mul_f32_e32 v145, 0xbeb8f4ab, v181
	v_add_f32_e32 v47, v47, v53
	v_fmac_f32_e32 v103, 0xbf4c4adb, v33
	v_add_f32_e32 v181, v211, v210
	v_add_f32_e32 v42, v42, v54
	;; [unrolled: 1-line block ×4, first 2 shown]
	v_fmamk_f32 v208, v32, 0x3f65296c, v135
	v_fmamk_f32 v209, v52, 0x3f6eb680, v145
	v_add_f32_e32 v40, v40, v42
	v_add_f32_e32 v42, v96, v54
	;; [unrolled: 1-line block ×3, first 2 shown]
	v_mul_f32_e32 v167, 0xbf2c7751, v167
	v_fmac_f32_e32 v98, 0x3ee437d1, v34
	v_add_f32_e32 v38, v38, v40
	v_add_f32_e32 v40, v97, v42
	;; [unrolled: 1-line block ×4, first 2 shown]
	v_fmamk_f32 v208, v30, 0x3f7ee86f, v58
	v_add_f32_e32 v1, v1, v38
	v_add_f32_e32 v38, v103, v40
	v_mul_f32_e32 v57, 0xbe8c1d8e, v120
	v_add_f32_e32 v120, v18, v209
	v_fmamk_f32 v209, v83, 0x3f3d2fb0, v167
	v_mul_f32_e32 v168, 0xbf65296c, v168
	v_fma_f32 v39, 0xbf7ba420, v52, -v99
	v_add_f32_e32 v1, v3, v1
	v_add_f32_e32 v0, v0, v37
	;; [unrolled: 1-line block ×3, first 2 shown]
	v_fmac_f32_e32 v92, 0xbe8c1d8e, v51
	v_add_f32_e32 v181, v208, v181
	v_fmamk_f32 v208, v33, 0x3f763a35, v57
	v_mul_f32_e32 v119, 0xbf4c4adb, v119
	v_add_f32_e32 v120, v209, v120
	v_fmamk_f32 v209, v84, 0x3ee437d1, v168
	v_mul_f32_e32 v171, 0xbf7ee86f, v171
	v_add_f32_e32 v37, v18, v39
	v_fma_f32 v38, 0x3f6eb680, v83, -v102
	v_add_f32_e32 v0, v2, v0
	v_fmac_f32_e32 v118, 0xbf06c442, v35
	v_add_f32_e32 v2, v92, v3
	v_fmac_f32_e32 v109, 0x3dbcf732, v81
	v_add_f32_e32 v181, v208, v181
	v_fma_f32 v208, 0xbf1a4643, v34, -v119
	v_add_f32_e32 v120, v209, v120
	v_fmamk_f32 v209, v85, 0x3dbcf732, v171
	v_mul_f32_e32 v175, 0xbf763a35, v175
	v_add_f32_e32 v37, v38, v37
	v_fma_f32 v38, 0xbf59a7d5, v84, -v93
	v_add_f32_e32 v39, v19, v118
	v_fmac_f32_e32 v104, 0x3f65296c, v31
	v_add_f32_e32 v3, v109, v2
	v_fma_f32 v2, 0xbf59a7d5, v52, -v126
	v_add_f32_e32 v139, v208, v181
	v_add_f32_e32 v120, v209, v120
	v_fmamk_f32 v208, v86, 0xbe8c1d8e, v175
	v_mul_f32_e32 v172, 0xbf4c4adb, v172
	v_add_f32_e32 v37, v38, v37
	v_fma_f32 v38, 0x3f3d2fb0, v85, -v90
	v_add_f32_e32 v39, v104, v39
	v_fmac_f32_e32 v108, 0xbf7ee86f, v32
	v_add_f32_e32 v2, v18, v2
	v_fma_f32 v40, 0x3ee437d1, v83, -v127
	v_add_f32_e32 v120, v208, v120
	v_fmamk_f32 v53, v87, 0xbf1a4643, v172
	v_mul_f32_e32 v94, 0xbf06c442, v179
	v_add_f32_e32 v37, v38, v37
	v_fma_f32 v38, 0xbf1a4643, v86, -v91
	v_add_f32_e32 v39, v108, v39
	v_fmac_f32_e32 v110, 0x3f4c4adb, v30
	v_add_f32_e32 v2, v40, v2
	v_fma_f32 v40, 0x3dbcf732, v84, -v128
	v_add_f32_e32 v53, v53, v120
	v_fmamk_f32 v47, v88, 0xbf59a7d5, v94
	v_mul_f32_e32 v95, 0xbe3c28d5, v185
	v_add_f32_e32 v37, v38, v37
	v_fma_f32 v38, 0x3ee437d1, v87, -v100
	v_add_f32_e32 v39, v110, v39
	v_fmac_f32_e32 v111, 0xbeb8f4ab, v33
	v_add_f32_e32 v2, v40, v2
	v_fma_f32 v40, 0xbf1a4643, v85, -v131
	v_add_f32_e32 v41, v47, v53
	v_fmamk_f32 v42, v89, 0xbf7ba420, v95
	v_add_f32_e32 v37, v38, v37
	v_fma_f32 v38, 0xbe8c1d8e, v88, -v101
	v_add_f32_e32 v39, v111, v39
	v_fmac_f32_e32 v115, 0xbf7ba420, v34
	v_add_f32_e32 v2, v40, v2
	v_fma_f32 v40, 0x3f6eb680, v86, -v148
	v_add_f32_e32 v47, v42, v41
	v_add_f32_e32 v37, v38, v37
	v_fma_f32 v38, 0x3dbcf732, v89, -v117
	v_add_f32_e32 v39, v115, v39
	v_fmac_f32_e32 v112, 0x3f3d2fb0, v51
	v_add_f32_e32 v40, v40, v2
	v_fma_f32 v41, 0xbf7ba420, v87, -v149
	v_fmac_f32_e32 v122, 0xbf4c4adb, v35
	v_add_f32_e32 v2, v38, v37
	v_add_f32_e32 v37, v112, v39
	v_fmac_f32_e32 v123, 0xbe8c1d8e, v81
	v_add_f32_e32 v39, v41, v40
	v_fma_f32 v40, 0x3f3d2fb0, v88, -v136
	v_add_f32_e32 v41, v19, v122
	v_fmac_f32_e32 v116, 0x3f763a35, v31
	v_add_f32_e32 v38, v123, v37
	v_fma_f32 v37, 0xbf1a4643, v52, -v138
	v_add_f32_e32 v39, v40, v39
	v_fma_f32 v40, 0xbe8c1d8e, v89, -v146
	v_add_f32_e32 v41, v116, v41
	v_fmac_f32_e32 v105, 0xbeb8f4ab, v32
	v_add_f32_e32 v42, v18, v37
	v_fma_f32 v53, 0xbe8c1d8e, v83, -v140
	v_add_f32_e32 v37, v40, v39
	v_fmac_f32_e32 v157, 0xbf763a35, v35
	v_add_f32_e32 v39, v105, v41
	v_fmac_f32_e32 v106, 0xbf06c442, v30
	v_add_f32_e32 v40, v53, v42
	v_fma_f32 v41, 0x3f6eb680, v84, -v129
	v_add_f32_e32 v42, v19, v157
	v_fmac_f32_e32 v158, 0x3f06c442, v31
	;; [unrolled: 6-line block ×6, first 2 shown]
	v_add_f32_e32 v40, v125, v39
	v_fma_f32 v39, 0xbe8c1d8e, v52, -v162
	v_add_f32_e32 v41, v53, v41
	v_fma_f32 v53, 0x3ee437d1, v89, -v166
	v_add_f32_e32 v42, v163, v42
	v_fmac_f32_e32 v144, 0x3f6eb680, v51
	v_add_f32_e32 v54, v18, v39
	v_fma_f32 v90, 0xbf59a7d5, v83, -v164
	v_fmac_f32_e32 v177, 0xbf7ee86f, v35
	v_add_f32_e32 v39, v53, v41
	v_add_f32_e32 v41, v144, v42
	v_fmac_f32_e32 v178, 0xbf1a4643, v81
	v_add_f32_e32 v53, v90, v54
	v_fma_f32 v54, 0x3f3d2fb0, v84, -v147
	v_add_f32_e32 v90, v19, v177
	v_fmac_f32_e32 v150, 0xbe3c28d5, v31
	v_add_f32_e32 v42, v178, v41
	v_fma_f32 v41, 0x3dbcf732, v52, -v184
	v_add_f32_e32 v53, v54, v53
	v_fma_f32 v54, 0x3ee437d1, v85, -v124
	v_add_f32_e32 v90, v150, v90
	v_fmac_f32_e32 v151, 0x3f763a35, v32
	v_add_f32_e32 v41, v18, v41
	v_fma_f32 v91, 0xbf7ba420, v83, -v186
	;; [unrolled: 6-line block ×6, first 2 shown]
	v_add_f32_e32 v41, v54, v53
	v_fmac_f32_e32 v182, 0xbf65296c, v35
	v_add_f32_e32 v53, v165, v90
	v_fmac_f32_e32 v183, 0x3f3d2fb0, v81
	v_add_f32_e32 v90, v92, v91
	v_fma_f32 v91, 0xbf1a4643, v88, -v191
	v_add_f32_e32 v92, v19, v182
	v_fmac_f32_e32 v170, 0xbf4c4adb, v31
	v_add_f32_e32 v54, v183, v53
	v_fma_f32 v53, 0x3ee437d1, v52, -v192
	v_add_f32_e32 v90, v91, v90
	v_fma_f32 v91, 0x3f3d2fb0, v89, -v197
	v_add_f32_e32 v92, v170, v92
	v_fmac_f32_e32 v152, 0x3e3c28d5, v32
	v_add_f32_e32 v93, v18, v53
	v_fma_f32 v96, 0xbf1a4643, v83, -v194
	v_add_f32_e32 v53, v91, v90
	v_fmac_f32_e32 v198, 0xbf2c7751, v35
	;; [unrolled: 4-line block ×3, first 2 shown]
	v_add_f32_e32 v93, v19, v198
	v_fmac_f32_e32 v199, 0xbf7ee86f, v31
	v_fmac_f32_e32 v154, 0x3f2c7751, v33
	v_add_f32_e32 v91, v92, v91
	v_fma_f32 v92, 0xbe8c1d8e, v85, -v190
	v_add_f32_e32 v90, v153, v90
	v_add_f32_e32 v93, v199, v93
	v_fmac_f32_e32 v15, 0xbf4c4adb, v32
	v_fmac_f32_e32 v176, 0x3f6eb680, v34
	v_add_f32_e32 v91, v92, v91
	v_fma_f32 v92, 0x3f3d2fb0, v86, -v196
	v_add_f32_e32 v90, v154, v90
	v_fma_f32 v14, 0x3f6eb680, v87, -v14
	v_add_f32_e32 v15, v15, v93
	v_fmac_f32_e32 v202, 0xbe3c28d5, v30
	v_add_f32_e32 v91, v92, v91
	v_add_f32_e32 v90, v176, v90
	v_fmac_f32_e32 v180, 0x3dbcf732, v51
	v_fmac_f32_e32 v203, 0x3f06c442, v33
	v_add_f32_e32 v15, v202, v15
	v_add_f32_e32 v14, v14, v91
	v_fma_f32 v91, 0x3dbcf732, v88, -v201
	v_add_f32_e32 v90, v180, v90
	v_fmac_f32_e32 v200, 0xbf59a7d5, v81
	v_fma_f32 v43, 0xbf59a7d5, v89, -v43
	v_add_f32_e32 v92, v203, v15
	v_add_f32_e32 v14, v91, v14
	v_fmac_f32_e32 v207, 0xbe8c1d8e, v34
	v_add_f32_e32 v15, v200, v90
	v_fma_f32 v90, 0x3f3d2fb0, v52, -v204
	v_fmac_f32_e32 v59, 0xbeb8f4ab, v35
	v_add_f32_e32 v14, v43, v14
	v_fma_f32 v43, 0x3f6eb680, v52, -v145
	v_add_f32_e32 v91, v207, v92
	v_add_f32_e32 v90, v18, v90
	v_fma_f32 v92, 0x3dbcf732, v83, -v205
	v_add_f32_e32 v19, v19, v59
	v_fmac_f32_e32 v60, 0xbf2c7751, v31
	v_add_f32_e32 v18, v18, v43
	v_fma_f32 v31, 0x3f3d2fb0, v83, -v167
	v_add_f32_e32 v52, v92, v90
	v_fma_f32 v44, 0xbf1a4643, v84, -v44
	v_add_f32_e32 v19, v60, v19
	v_fmac_f32_e32 v135, 0xbf65296c, v32
	v_add_f32_e32 v18, v31, v18
	v_fma_f32 v31, 0x3ee437d1, v84, -v168
	;; [unrolled: 6-line block ×3, first 2 shown]
	v_mul_f32_e32 v121, 0xbf06c442, v121
	v_add_f32_e32 v32, v44, v43
	v_fma_f32 v43, 0xbf59a7d5, v86, -v45
	v_add_f32_e32 v19, v58, v19
	v_fmac_f32_e32 v57, 0xbf763a35, v33
	v_add_f32_e32 v18, v30, v18
	v_fma_f32 v30, 0xbe8c1d8e, v86, -v175
	v_fma_f32 v181, 0xbf59a7d5, v51, -v121
	v_mul_f32_e32 v174, 0xbe3c28d5, v174
	v_add_f32_e32 v31, v43, v32
	v_fma_f32 v32, 0xbe8c1d8e, v87, -v49
	v_add_f32_e32 v19, v57, v19
	v_fmac_f32_e32 v119, 0xbf1a4643, v34
	v_add_f32_e32 v18, v30, v18
	v_fma_f32 v30, 0xbf1a4643, v87, -v172
	v_add_f32_e32 v132, v181, v139
	v_fma_f32 v139, 0xbf7ba420, v81, -v174
	v_fmac_f32_e32 v206, 0x3ee437d1, v51
	v_add_f32_e32 v31, v32, v31
	v_fma_f32 v32, 0x3ee437d1, v88, -v55
	v_add_f32_e32 v19, v119, v19
	v_fmac_f32_e32 v121, 0xbf59a7d5, v51
	v_add_f32_e32 v18, v30, v18
	v_fma_f32 v30, 0xbf59a7d5, v88, -v94
	v_and_b32_e32 v33, 0xffff, v82
	v_add_f32_e32 v48, v139, v132
	v_add_f32_e32 v35, v206, v91
	v_fmac_f32_e32 v50, 0x3f6eb680, v81
	v_add_f32_e32 v31, v32, v31
	v_fma_f32 v32, 0x3f6eb680, v89, -v56
	v_add_f32_e32 v34, v121, v19
	v_fmac_f32_e32 v174, 0xbf7ba420, v81
	v_add_f32_e32 v30, v30, v18
	v_fma_f32 v43, 0xbf7ba420, v89, -v95
	v_lshl_add_u32 v33, v33, 3, v80
	v_add_f32_e32 v19, v50, v35
	v_add_f32_e32 v18, v32, v31
	;; [unrolled: 1-line block ×4, first 2 shown]
	ds_write2_b64 v33, v[0:1], v[47:48] offset1:1
	ds_write2_b64 v33, v[12:13], v[8:9] offset0:2 offset1:3
	ds_write2_b64 v33, v[26:27], v[24:25] offset0:4 offset1:5
	;; [unrolled: 1-line block ×7, first 2 shown]
	ds_write_b64 v33, v[30:31] offset:128
.LBB0_13:
	s_or_b32 exec_lo, exec_lo, s4
	s_waitcnt lgkmcnt(0)
	s_barrier
	buffer_gl0_inv
	ds_read2_b64 v[0:3], v29 offset1:17
	ds_read2_b64 v[8:11], v29 offset0:34 offset1:51
	s_waitcnt lgkmcnt(1)
	v_mul_f32_e32 v12, v5, v3
	v_mul_f32_e32 v5, v5, v2
	s_waitcnt lgkmcnt(0)
	v_mul_f32_e32 v13, v7, v9
	v_mul_f32_e32 v7, v7, v8
	;; [unrolled: 1-line block ×4, first 2 shown]
	v_fmac_f32_e32 v12, v4, v2
	v_fma_f32 v2, v4, v3, -v5
	v_fmac_f32_e32 v13, v6, v8
	v_fma_f32 v3, v6, v9, -v7
	;; [unrolled: 2-line block ×3, first 2 shown]
	v_sub_f32_e32 v5, v0, v13
	v_sub_f32_e32 v6, v1, v3
	;; [unrolled: 1-line block ×4, first 2 shown]
	v_fma_f32 v7, v0, 2.0, -v5
	v_fma_f32 v8, v1, 2.0, -v6
	;; [unrolled: 1-line block ×4, first 2 shown]
	v_add_f32_e32 v0, v5, v4
	v_sub_f32_e32 v1, v6, v3
	v_sub_f32_e32 v2, v7, v9
	;; [unrolled: 1-line block ×3, first 2 shown]
	v_fma_f32 v4, v5, 2.0, -v0
	v_fma_f32 v5, v6, 2.0, -v1
	;; [unrolled: 1-line block ×4, first 2 shown]
	ds_write2_b64 v28, v[2:3], v[0:1] offset0:34 offset1:51
	ds_write2_b64 v28, v[6:7], v[4:5] offset1:17
	s_waitcnt lgkmcnt(0)
	s_barrier
	buffer_gl0_inv
	s_and_b32 exec_lo, exec_lo, vcc_lo
	s_cbranch_execz .LBB0_15
; %bb.14:
	global_load_dwordx2 v[0:1], v61, s[6:7]
	ds_read_b64 v[2:3], v79
	s_mov_b32 s4, 0x1e1e1e1e
	s_mov_b32 s5, 0x3f8e1e1e
	v_mad_u64_u32 v[6:7], null, s0, v78, 0
	s_waitcnt vmcnt(0) lgkmcnt(0)
	v_mul_f32_e32 v4, v3, v1
	v_mul_f32_e32 v1, v2, v1
	v_fmac_f32_e32 v4, v2, v0
	v_fma_f32 v2, v0, v3, -v1
	v_cvt_f64_f32_e32 v[0:1], v4
	v_cvt_f64_f32_e32 v[2:3], v2
	v_mad_u64_u32 v[4:5], null, s2, v36, 0
	v_mad_u64_u32 v[8:9], null, s3, v36, v[5:6]
	;; [unrolled: 1-line block ×3, first 2 shown]
	v_mov_b32_e32 v5, v8
	v_mul_f64 v[0:1], v[0:1], s[4:5]
	v_mul_f64 v[2:3], v[2:3], s[4:5]
	v_mov_b32_e32 v7, v9
	v_cvt_f32_f64_e32 v10, v[0:1]
	v_cvt_f32_f64_e32 v11, v[2:3]
	v_lshlrev_b64 v[0:1], 3, v[4:5]
	v_lshlrev_b64 v[2:3], 3, v[6:7]
	v_add_co_u32 v0, vcc_lo, s12, v0
	v_add_co_ci_u32_e32 v1, vcc_lo, s13, v1, vcc_lo
	v_add_co_u32 v2, vcc_lo, v0, v2
	v_add_co_ci_u32_e32 v3, vcc_lo, v1, v3, vcc_lo
	global_store_dwordx2 v[2:3], v[10:11], off
	global_load_dwordx2 v[6:7], v61, s[6:7] offset:32
	ds_read2_b64 v[2:5], v28 offset0:4 offset1:8
	s_waitcnt vmcnt(0) lgkmcnt(0)
	v_mul_f32_e32 v8, v3, v7
	v_mul_f32_e32 v7, v2, v7
	v_fmac_f32_e32 v8, v2, v6
	v_fma_f32 v6, v6, v3, -v7
	v_cvt_f64_f32_e32 v[2:3], v8
	v_cvt_f64_f32_e32 v[6:7], v6
	v_mad_u64_u32 v[8:9], null, s0, v77, 0
	v_mad_u64_u32 v[9:10], null, s1, v77, v[9:10]
	v_mul_f64 v[2:3], v[2:3], s[4:5]
	v_mul_f64 v[6:7], v[6:7], s[4:5]
	v_cvt_f32_f64_e32 v2, v[2:3]
	v_cvt_f32_f64_e32 v3, v[6:7]
	v_lshlrev_b64 v[6:7], 3, v[8:9]
	v_add_co_u32 v6, vcc_lo, v0, v6
	v_add_co_ci_u32_e32 v7, vcc_lo, v1, v7, vcc_lo
	global_store_dwordx2 v[6:7], v[2:3], off
	global_load_dwordx2 v[2:3], v61, s[6:7] offset:64
	s_waitcnt vmcnt(0)
	v_mul_f32_e32 v6, v5, v3
	v_mul_f32_e32 v3, v4, v3
	v_fmac_f32_e32 v6, v4, v2
	v_fma_f32 v4, v2, v5, -v3
	v_cvt_f64_f32_e32 v[2:3], v6
	v_cvt_f64_f32_e32 v[4:5], v4
	v_mad_u64_u32 v[6:7], null, s0, v76, 0
	v_mad_u64_u32 v[7:8], null, s1, v76, v[7:8]
	v_mul_f64 v[2:3], v[2:3], s[4:5]
	v_mul_f64 v[4:5], v[4:5], s[4:5]
	v_cvt_f32_f64_e32 v2, v[2:3]
	v_cvt_f32_f64_e32 v3, v[4:5]
	v_lshlrev_b64 v[4:5], 3, v[6:7]
	v_add_co_u32 v4, vcc_lo, v0, v4
	v_add_co_ci_u32_e32 v5, vcc_lo, v1, v5, vcc_lo
	global_store_dwordx2 v[4:5], v[2:3], off
	global_load_dwordx2 v[6:7], v61, s[6:7] offset:96
	ds_read2_b64 v[2:5], v28 offset0:12 offset1:16
	s_waitcnt vmcnt(0) lgkmcnt(0)
	v_mul_f32_e32 v8, v3, v7
	v_mul_f32_e32 v7, v2, v7
	v_fmac_f32_e32 v8, v2, v6
	v_fma_f32 v6, v6, v3, -v7
	v_cvt_f64_f32_e32 v[2:3], v8
	v_cvt_f64_f32_e32 v[6:7], v6
	v_mad_u64_u32 v[8:9], null, s0, v75, 0
	v_mad_u64_u32 v[9:10], null, s1, v75, v[9:10]
	v_mul_f64 v[2:3], v[2:3], s[4:5]
	v_mul_f64 v[6:7], v[6:7], s[4:5]
	v_cvt_f32_f64_e32 v2, v[2:3]
	v_cvt_f32_f64_e32 v3, v[6:7]
	v_lshlrev_b64 v[6:7], 3, v[8:9]
	v_add_co_u32 v6, vcc_lo, v0, v6
	v_add_co_ci_u32_e32 v7, vcc_lo, v1, v7, vcc_lo
	global_store_dwordx2 v[6:7], v[2:3], off
	global_load_dwordx2 v[2:3], v61, s[6:7] offset:128
	s_waitcnt vmcnt(0)
	v_mul_f32_e32 v6, v5, v3
	v_mul_f32_e32 v3, v4, v3
	v_fmac_f32_e32 v6, v4, v2
	v_fma_f32 v4, v2, v5, -v3
	v_cvt_f64_f32_e32 v[2:3], v6
	v_cvt_f64_f32_e32 v[4:5], v4
	v_mad_u64_u32 v[6:7], null, s0, v74, 0
	v_mad_u64_u32 v[7:8], null, s1, v74, v[7:8]
	v_mul_f64 v[2:3], v[2:3], s[4:5]
	v_mul_f64 v[4:5], v[4:5], s[4:5]
	v_cvt_f32_f64_e32 v2, v[2:3]
	v_cvt_f32_f64_e32 v3, v[4:5]
	v_lshlrev_b64 v[4:5], 3, v[6:7]
	;; [unrolled: 37-line block ×8, first 2 shown]
	v_add_co_u32 v0, vcc_lo, v0, v4
	v_add_co_ci_u32_e32 v1, vcc_lo, v1, v5, vcc_lo
	global_store_dwordx2 v[0:1], v[2:3], off
.LBB0_15:
	s_endpgm
	.section	.rodata,"a",@progbits
	.p2align	6, 0x0
	.amdhsa_kernel bluestein_single_back_len68_dim1_sp_op_CI_CI
		.amdhsa_group_segment_fixed_size 8160
		.amdhsa_private_segment_fixed_size 0
		.amdhsa_kernarg_size 104
		.amdhsa_user_sgpr_count 6
		.amdhsa_user_sgpr_private_segment_buffer 1
		.amdhsa_user_sgpr_dispatch_ptr 0
		.amdhsa_user_sgpr_queue_ptr 0
		.amdhsa_user_sgpr_kernarg_segment_ptr 1
		.amdhsa_user_sgpr_dispatch_id 0
		.amdhsa_user_sgpr_flat_scratch_init 0
		.amdhsa_user_sgpr_private_segment_size 0
		.amdhsa_wavefront_size32 1
		.amdhsa_uses_dynamic_stack 0
		.amdhsa_system_sgpr_private_segment_wavefront_offset 0
		.amdhsa_system_sgpr_workgroup_id_x 1
		.amdhsa_system_sgpr_workgroup_id_y 0
		.amdhsa_system_sgpr_workgroup_id_z 0
		.amdhsa_system_sgpr_workgroup_info 0
		.amdhsa_system_vgpr_workitem_id 0
		.amdhsa_next_free_vgpr 212
		.amdhsa_next_free_sgpr 14
		.amdhsa_reserve_vcc 1
		.amdhsa_reserve_flat_scratch 0
		.amdhsa_float_round_mode_32 0
		.amdhsa_float_round_mode_16_64 0
		.amdhsa_float_denorm_mode_32 3
		.amdhsa_float_denorm_mode_16_64 3
		.amdhsa_dx10_clamp 1
		.amdhsa_ieee_mode 1
		.amdhsa_fp16_overflow 0
		.amdhsa_workgroup_processor_mode 1
		.amdhsa_memory_ordered 1
		.amdhsa_forward_progress 0
		.amdhsa_shared_vgpr_count 0
		.amdhsa_exception_fp_ieee_invalid_op 0
		.amdhsa_exception_fp_denorm_src 0
		.amdhsa_exception_fp_ieee_div_zero 0
		.amdhsa_exception_fp_ieee_overflow 0
		.amdhsa_exception_fp_ieee_underflow 0
		.amdhsa_exception_fp_ieee_inexact 0
		.amdhsa_exception_int_div_zero 0
	.end_amdhsa_kernel
	.text
.Lfunc_end0:
	.size	bluestein_single_back_len68_dim1_sp_op_CI_CI, .Lfunc_end0-bluestein_single_back_len68_dim1_sp_op_CI_CI
                                        ; -- End function
	.section	.AMDGPU.csdata,"",@progbits
; Kernel info:
; codeLenInByte = 15264
; NumSgprs: 16
; NumVgprs: 212
; ScratchSize: 0
; MemoryBound: 0
; FloatMode: 240
; IeeeMode: 1
; LDSByteSize: 8160 bytes/workgroup (compile time only)
; SGPRBlocks: 1
; VGPRBlocks: 26
; NumSGPRsForWavesPerEU: 16
; NumVGPRsForWavesPerEU: 212
; Occupancy: 4
; WaveLimiterHint : 1
; COMPUTE_PGM_RSRC2:SCRATCH_EN: 0
; COMPUTE_PGM_RSRC2:USER_SGPR: 6
; COMPUTE_PGM_RSRC2:TRAP_HANDLER: 0
; COMPUTE_PGM_RSRC2:TGID_X_EN: 1
; COMPUTE_PGM_RSRC2:TGID_Y_EN: 0
; COMPUTE_PGM_RSRC2:TGID_Z_EN: 0
; COMPUTE_PGM_RSRC2:TIDIG_COMP_CNT: 0
	.text
	.p2alignl 6, 3214868480
	.fill 48, 4, 3214868480
	.type	__hip_cuid_399d7afa4cf152c7,@object ; @__hip_cuid_399d7afa4cf152c7
	.section	.bss,"aw",@nobits
	.globl	__hip_cuid_399d7afa4cf152c7
__hip_cuid_399d7afa4cf152c7:
	.byte	0                               ; 0x0
	.size	__hip_cuid_399d7afa4cf152c7, 1

	.ident	"AMD clang version 19.0.0git (https://github.com/RadeonOpenCompute/llvm-project roc-6.4.0 25133 c7fe45cf4b819c5991fe208aaa96edf142730f1d)"
	.section	".note.GNU-stack","",@progbits
	.addrsig
	.addrsig_sym __hip_cuid_399d7afa4cf152c7
	.amdgpu_metadata
---
amdhsa.kernels:
  - .args:
      - .actual_access:  read_only
        .address_space:  global
        .offset:         0
        .size:           8
        .value_kind:     global_buffer
      - .actual_access:  read_only
        .address_space:  global
        .offset:         8
        .size:           8
        .value_kind:     global_buffer
      - .actual_access:  read_only
        .address_space:  global
        .offset:         16
        .size:           8
        .value_kind:     global_buffer
      - .actual_access:  read_only
        .address_space:  global
        .offset:         24
        .size:           8
        .value_kind:     global_buffer
      - .actual_access:  read_only
        .address_space:  global
        .offset:         32
        .size:           8
        .value_kind:     global_buffer
      - .offset:         40
        .size:           8
        .value_kind:     by_value
      - .address_space:  global
        .offset:         48
        .size:           8
        .value_kind:     global_buffer
      - .address_space:  global
        .offset:         56
        .size:           8
        .value_kind:     global_buffer
      - .address_space:  global
        .offset:         64
        .size:           8
        .value_kind:     global_buffer
      - .address_space:  global
        .offset:         72
        .size:           8
        .value_kind:     global_buffer
      - .offset:         80
        .size:           4
        .value_kind:     by_value
      - .address_space:  global
        .offset:         88
        .size:           8
        .value_kind:     global_buffer
      - .address_space:  global
        .offset:         96
        .size:           8
        .value_kind:     global_buffer
    .group_segment_fixed_size: 8160
    .kernarg_segment_align: 8
    .kernarg_segment_size: 104
    .language:       OpenCL C
    .language_version:
      - 2
      - 0
    .max_flat_workgroup_size: 255
    .name:           bluestein_single_back_len68_dim1_sp_op_CI_CI
    .private_segment_fixed_size: 0
    .sgpr_count:     16
    .sgpr_spill_count: 0
    .symbol:         bluestein_single_back_len68_dim1_sp_op_CI_CI.kd
    .uniform_work_group_size: 1
    .uses_dynamic_stack: false
    .vgpr_count:     212
    .vgpr_spill_count: 0
    .wavefront_size: 32
    .workgroup_processor_mode: 1
amdhsa.target:   amdgcn-amd-amdhsa--gfx1030
amdhsa.version:
  - 1
  - 2
...

	.end_amdgpu_metadata
